;; amdgpu-corpus repo=ROCm/rocFFT kind=compiled arch=gfx950 opt=O3
	.text
	.amdgcn_target "amdgcn-amd-amdhsa--gfx950"
	.amdhsa_code_object_version 6
	.protected	fft_rtc_back_len676_factors_13_13_4_wgs_52_tpt_52_sp_op_CI_CI_unitstride_sbrr_dirReg ; -- Begin function fft_rtc_back_len676_factors_13_13_4_wgs_52_tpt_52_sp_op_CI_CI_unitstride_sbrr_dirReg
	.globl	fft_rtc_back_len676_factors_13_13_4_wgs_52_tpt_52_sp_op_CI_CI_unitstride_sbrr_dirReg
	.p2align	8
	.type	fft_rtc_back_len676_factors_13_13_4_wgs_52_tpt_52_sp_op_CI_CI_unitstride_sbrr_dirReg,@function
fft_rtc_back_len676_factors_13_13_4_wgs_52_tpt_52_sp_op_CI_CI_unitstride_sbrr_dirReg: ; @fft_rtc_back_len676_factors_13_13_4_wgs_52_tpt_52_sp_op_CI_CI_unitstride_sbrr_dirReg
; %bb.0:
	s_load_dwordx4 s[8:11], s[0:1], 0x58
	s_load_dwordx4 s[4:7], s[0:1], 0x0
	;; [unrolled: 1-line block ×3, first 2 shown]
	v_mul_u32_u24_e32 v1, 0x4ed, v0
	v_add_u32_sdwa v6, s2, v1 dst_sel:DWORD dst_unused:UNUSED_PAD src0_sel:DWORD src1_sel:WORD_1
	v_mov_b32_e32 v2, 0
	s_waitcnt lgkmcnt(0)
	v_cmp_lt_u64_e64 s[2:3], s[6:7], 2
	v_mov_b32_e32 v7, v2
	s_and_b64 vcc, exec, s[2:3]
	v_mov_b64_e32 v[4:5], 0
	s_cbranch_vccnz .LBB0_8
; %bb.1:
	s_load_dwordx2 s[2:3], s[0:1], 0x10
	s_add_u32 s16, s14, 8
	s_addc_u32 s17, s15, 0
	s_add_u32 s18, s12, 8
	s_addc_u32 s19, s13, 0
	s_waitcnt lgkmcnt(0)
	s_add_u32 s20, s2, 8
	v_mov_b64_e32 v[4:5], 0
	s_addc_u32 s21, s3, 0
	s_mov_b64 s[22:23], 1
	v_mov_b64_e32 v[34:35], v[4:5]
.LBB0_2:                                ; =>This Inner Loop Header: Depth=1
	s_load_dwordx2 s[24:25], s[20:21], 0x0
                                        ; implicit-def: $vgpr36_vgpr37
	s_waitcnt lgkmcnt(0)
	v_or_b32_e32 v3, s25, v7
	v_cmp_ne_u64_e32 vcc, 0, v[2:3]
	s_and_saveexec_b64 s[2:3], vcc
	s_xor_b64 s[26:27], exec, s[2:3]
	s_cbranch_execz .LBB0_4
; %bb.3:                                ;   in Loop: Header=BB0_2 Depth=1
	v_cvt_f32_u32_e32 v1, s24
	v_cvt_f32_u32_e32 v3, s25
	s_sub_u32 s2, 0, s24
	s_subb_u32 s3, 0, s25
	v_fmac_f32_e32 v1, 0x4f800000, v3
	v_rcp_f32_e32 v1, v1
	s_nop 0
	v_mul_f32_e32 v1, 0x5f7ffffc, v1
	v_mul_f32_e32 v3, 0x2f800000, v1
	v_trunc_f32_e32 v3, v3
	v_fmac_f32_e32 v1, 0xcf800000, v3
	v_cvt_u32_f32_e32 v3, v3
	v_cvt_u32_f32_e32 v1, v1
	v_mul_lo_u32 v8, s2, v3
	v_mul_hi_u32 v10, s2, v1
	v_mul_lo_u32 v9, s3, v1
	v_add_u32_e32 v10, v10, v8
	v_mul_lo_u32 v12, s2, v1
	v_add_u32_e32 v13, v10, v9
	v_mul_hi_u32 v8, v1, v12
	v_mul_hi_u32 v11, v1, v13
	v_mul_lo_u32 v10, v1, v13
	v_mov_b32_e32 v9, v2
	v_lshl_add_u64 v[8:9], v[8:9], 0, v[10:11]
	v_mul_hi_u32 v11, v3, v12
	v_mul_lo_u32 v12, v3, v12
	v_add_co_u32_e32 v8, vcc, v8, v12
	v_mul_hi_u32 v10, v3, v13
	s_nop 0
	v_addc_co_u32_e32 v8, vcc, v9, v11, vcc
	v_mov_b32_e32 v9, v2
	s_nop 0
	v_addc_co_u32_e32 v11, vcc, 0, v10, vcc
	v_mul_lo_u32 v10, v3, v13
	v_lshl_add_u64 v[8:9], v[8:9], 0, v[10:11]
	v_add_co_u32_e32 v1, vcc, v1, v8
	v_mul_lo_u32 v10, s2, v1
	s_nop 0
	v_addc_co_u32_e32 v3, vcc, v3, v9, vcc
	v_mul_lo_u32 v8, s2, v3
	v_mul_hi_u32 v9, s2, v1
	v_add_u32_e32 v8, v9, v8
	v_mul_lo_u32 v9, s3, v1
	v_add_u32_e32 v12, v8, v9
	v_mul_hi_u32 v14, v3, v10
	v_mul_lo_u32 v15, v3, v10
	v_mul_hi_u32 v9, v1, v12
	v_mul_lo_u32 v8, v1, v12
	v_mul_hi_u32 v10, v1, v10
	v_mov_b32_e32 v11, v2
	v_lshl_add_u64 v[8:9], v[10:11], 0, v[8:9]
	v_add_co_u32_e32 v8, vcc, v8, v15
	v_mul_hi_u32 v13, v3, v12
	s_nop 0
	v_addc_co_u32_e32 v8, vcc, v9, v14, vcc
	v_mul_lo_u32 v10, v3, v12
	s_nop 0
	v_addc_co_u32_e32 v11, vcc, 0, v13, vcc
	v_mov_b32_e32 v9, v2
	v_lshl_add_u64 v[8:9], v[8:9], 0, v[10:11]
	v_add_co_u32_e32 v1, vcc, v1, v8
	v_mul_hi_u32 v10, v6, v1
	s_nop 0
	v_addc_co_u32_e32 v3, vcc, v3, v9, vcc
	v_mad_u64_u32 v[8:9], s[2:3], v6, v3, 0
	v_mov_b32_e32 v11, v2
	v_lshl_add_u64 v[8:9], v[10:11], 0, v[8:9]
	v_mad_u64_u32 v[12:13], s[2:3], v7, v1, 0
	v_add_co_u32_e32 v1, vcc, v8, v12
	v_mad_u64_u32 v[10:11], s[2:3], v7, v3, 0
	s_nop 0
	v_addc_co_u32_e32 v8, vcc, v9, v13, vcc
	v_mov_b32_e32 v9, v2
	s_nop 0
	v_addc_co_u32_e32 v11, vcc, 0, v11, vcc
	v_lshl_add_u64 v[8:9], v[8:9], 0, v[10:11]
	v_mul_lo_u32 v1, s25, v8
	v_mul_lo_u32 v3, s24, v9
	v_mad_u64_u32 v[10:11], s[2:3], s24, v8, 0
	v_add3_u32 v1, v11, v3, v1
	v_sub_u32_e32 v3, v7, v1
	v_mov_b32_e32 v11, s25
	v_sub_co_u32_e32 v14, vcc, v6, v10
	v_lshl_add_u64 v[12:13], v[8:9], 0, 1
	s_nop 0
	v_subb_co_u32_e64 v3, s[2:3], v3, v11, vcc
	v_subrev_co_u32_e64 v10, s[2:3], s24, v14
	v_subb_co_u32_e32 v1, vcc, v7, v1, vcc
	s_nop 0
	v_subbrev_co_u32_e64 v3, s[2:3], 0, v3, s[2:3]
	v_cmp_le_u32_e64 s[2:3], s25, v3
	v_cmp_le_u32_e32 vcc, s25, v1
	s_nop 0
	v_cndmask_b32_e64 v11, 0, -1, s[2:3]
	v_cmp_le_u32_e64 s[2:3], s24, v10
	s_nop 1
	v_cndmask_b32_e64 v10, 0, -1, s[2:3]
	v_cmp_eq_u32_e64 s[2:3], s25, v3
	s_nop 1
	v_cndmask_b32_e64 v3, v11, v10, s[2:3]
	v_lshl_add_u64 v[10:11], v[8:9], 0, 2
	v_cmp_ne_u32_e64 s[2:3], 0, v3
	s_nop 1
	v_cndmask_b32_e64 v3, v13, v11, s[2:3]
	v_cndmask_b32_e64 v11, 0, -1, vcc
	v_cmp_le_u32_e32 vcc, s24, v14
	s_nop 1
	v_cndmask_b32_e64 v13, 0, -1, vcc
	v_cmp_eq_u32_e32 vcc, s25, v1
	s_nop 1
	v_cndmask_b32_e32 v1, v11, v13, vcc
	v_cmp_ne_u32_e32 vcc, 0, v1
	v_cndmask_b32_e64 v1, v12, v10, s[2:3]
	s_nop 0
	v_cndmask_b32_e32 v37, v9, v3, vcc
	v_cndmask_b32_e32 v36, v8, v1, vcc
.LBB0_4:                                ;   in Loop: Header=BB0_2 Depth=1
	s_andn2_saveexec_b64 s[2:3], s[26:27]
	s_cbranch_execz .LBB0_6
; %bb.5:                                ;   in Loop: Header=BB0_2 Depth=1
	v_cvt_f32_u32_e32 v1, s24
	s_sub_i32 s26, 0, s24
	v_mov_b32_e32 v37, v2
	v_rcp_iflag_f32_e32 v1, v1
	s_nop 0
	v_mul_f32_e32 v1, 0x4f7ffffe, v1
	v_cvt_u32_f32_e32 v1, v1
	v_mul_lo_u32 v3, s26, v1
	v_mul_hi_u32 v3, v1, v3
	v_add_u32_e32 v1, v1, v3
	v_mul_hi_u32 v1, v6, v1
	v_mul_lo_u32 v3, v1, s24
	v_sub_u32_e32 v3, v6, v3
	v_add_u32_e32 v8, 1, v1
	v_subrev_u32_e32 v9, s24, v3
	v_cmp_le_u32_e32 vcc, s24, v3
	s_nop 1
	v_cndmask_b32_e32 v3, v3, v9, vcc
	v_cndmask_b32_e32 v1, v1, v8, vcc
	v_add_u32_e32 v8, 1, v1
	v_cmp_le_u32_e32 vcc, s24, v3
	s_nop 1
	v_cndmask_b32_e32 v36, v1, v8, vcc
.LBB0_6:                                ;   in Loop: Header=BB0_2 Depth=1
	s_or_b64 exec, exec, s[2:3]
	v_mad_u64_u32 v[8:9], s[2:3], v36, s24, 0
	s_load_dwordx2 s[2:3], s[18:19], 0x0
	v_mul_lo_u32 v1, v37, s24
	v_mul_lo_u32 v3, v36, s25
	s_load_dwordx2 s[24:25], s[16:17], 0x0
	s_add_u32 s22, s22, 1
	v_add3_u32 v1, v9, v3, v1
	v_sub_co_u32_e32 v3, vcc, v6, v8
	s_addc_u32 s23, s23, 0
	s_nop 0
	v_subb_co_u32_e32 v1, vcc, v7, v1, vcc
	s_add_u32 s16, s16, 8
	s_waitcnt lgkmcnt(0)
	v_mul_lo_u32 v6, s2, v1
	v_mul_lo_u32 v7, s3, v3
	v_mad_u64_u32 v[4:5], s[2:3], s2, v3, v[4:5]
	s_addc_u32 s17, s17, 0
	v_add3_u32 v5, v7, v5, v6
	v_mul_lo_u32 v1, s24, v1
	v_mul_lo_u32 v6, s25, v3
	v_mad_u64_u32 v[34:35], s[2:3], s24, v3, v[34:35]
	s_add_u32 s18, s18, 8
	v_add3_u32 v35, v6, v35, v1
	s_addc_u32 s19, s19, 0
	v_mov_b64_e32 v[6:7], s[6:7]
	s_add_u32 s20, s20, 8
	v_cmp_ge_u64_e32 vcc, s[22:23], v[6:7]
	s_addc_u32 s21, s21, 0
	s_cbranch_vccnz .LBB0_9
; %bb.7:                                ;   in Loop: Header=BB0_2 Depth=1
	v_mov_b64_e32 v[6:7], v[36:37]
	s_branch .LBB0_2
.LBB0_8:
	v_mov_b64_e32 v[34:35], v[4:5]
	v_mov_b64_e32 v[36:37], v[6:7]
.LBB0_9:
	s_load_dwordx2 s[0:1], s[0:1], 0x28
	s_lshl_b64 s[6:7], s[6:7], 3
	s_add_u32 s44, s14, s6
	s_addc_u32 s45, s15, s7
                                        ; implicit-def: $sgpr14_sgpr15
                                        ; implicit-def: $vgpr102
	s_waitcnt lgkmcnt(0)
	v_cmp_gt_u64_e32 vcc, s[0:1], v[36:37]
	v_cmp_le_u64_e64 s[0:1], s[0:1], v[36:37]
	s_and_saveexec_b64 s[2:3], s[0:1]
	s_xor_b64 s[0:1], exec, s[2:3]
; %bb.10:
	s_mov_b32 s2, 0x4ec4ec5
	v_mul_hi_u32 v1, v0, s2
	v_mul_u32_u24_e32 v1, 52, v1
	v_sub_u32_e32 v102, v0, v1
	s_mov_b64 s[14:15], 0
                                        ; implicit-def: $vgpr0
                                        ; implicit-def: $vgpr4_vgpr5
; %bb.11:
	s_or_saveexec_b64 s[2:3], s[0:1]
	v_mov_b64_e32 v[2:3], s[14:15]
                                        ; implicit-def: $vgpr42
                                        ; implicit-def: $vgpr46
                                        ; implicit-def: $vgpr60
                                        ; implicit-def: $vgpr56
                                        ; implicit-def: $vgpr66
                                        ; implicit-def: $vgpr44
                                        ; implicit-def: $vgpr48
                                        ; implicit-def: $vgpr54
                                        ; implicit-def: $vgpr58
                                        ; implicit-def: $vgpr68
                                        ; implicit-def: $vgpr72
                                        ; implicit-def: $vgpr70
	s_xor_b64 exec, exec, s[2:3]
	s_cbranch_execz .LBB0_13
; %bb.12:
	s_add_u32 s0, s12, s6
	s_addc_u32 s1, s13, s7
	s_load_dwordx2 s[0:1], s[0:1], 0x0
	s_mov_b32 s6, 0x4ec4ec5
	s_waitcnt lgkmcnt(0)
	v_mul_lo_u32 v1, s1, v36
	v_mul_lo_u32 v6, s0, v37
	v_mad_u64_u32 v[2:3], s[0:1], s0, v36, 0
	v_add3_u32 v3, v3, v6, v1
	v_mul_hi_u32 v1, v0, s6
	v_mul_u32_u24_e32 v1, 52, v1
	v_sub_u32_e32 v102, v0, v1
	v_lshl_add_u64 v[0:1], v[2:3], 3, s[8:9]
	v_lshl_add_u64 v[0:1], v[4:5], 3, v[0:1]
	v_lshlrev_b32_e32 v2, 3, v102
	v_mov_b32_e32 v3, 0
	v_lshl_add_u64 v[0:1], v[0:1], 0, v[2:3]
	global_load_dwordx2 v[2:3], v[0:1], off
	global_load_dwordx2 v[72:73], v[0:1], off offset:416
	global_load_dwordx2 v[70:71], v[0:1], off offset:832
	;; [unrolled: 1-line block ×7, first 2 shown]
	s_movk_i32 s0, 0x1000
	v_add_co_u32_e64 v4, s[0:1], s0, v0
	s_nop 1
	v_addc_co_u32_e64 v5, s[0:1], 0, v1, s[0:1]
	global_load_dwordx2 v[66:67], v[0:1], off offset:3328
	global_load_dwordx2 v[56:57], v[0:1], off offset:3744
	;; [unrolled: 1-line block ×5, first 2 shown]
.LBB0_13:
	s_or_b64 exec, exec, s[2:3]
	s_waitcnt vmcnt(0)
	v_pk_add_f32 v[8:9], v[72:73], v[42:43]
	v_pk_add_f32 v[12:13], v[72:73], v[42:43] neg_lo:[0,1] neg_hi:[0,1]
	s_mov_b32 s14, 0xbeedf032
	v_mov_b32_e32 v50, v13
	v_mov_b32_e32 v51, v9
	s_mov_b32 s15, 0x3f62ad3f
	v_pk_mul_f32 v[10:11], v[50:51], s[14:15]
	v_mov_b32_e32 v9, v12
	s_mov_b32 s48, s15
	s_mov_b32 s49, s14
	v_pk_add_f32 v[6:7], v[70:71], v[46:47]
	v_pk_add_f32 v[16:17], v[70:71], v[46:47] neg_lo:[0,1] neg_hi:[0,1]
	v_pk_fma_f32 v[12:13], v[8:9], s[48:49], v[10:11]
	v_pk_fma_f32 v[14:15], v[8:9], s[48:49], v[10:11] neg_lo:[1,0,0] neg_hi:[1,0,0]
	s_mov_b32 s24, 0xbf52af12
	v_mov_b32_e32 v14, v12
	v_mov_b32_e32 v62, v17
	;; [unrolled: 1-line block ×3, first 2 shown]
	s_mov_b32 s25, 0x3f116cb1
	v_pk_add_f32 v[18:19], v[14:15], v[2:3]
	v_pk_mul_f32 v[14:15], v[62:63], s[24:25]
	v_mov_b32_e32 v7, v16
	s_mov_b32 s0, s25
	s_mov_b32 s1, s24
	v_pk_add_f32 v[4:5], v[68:69], v[60:61]
	v_pk_add_f32 v[20:21], v[68:69], v[60:61] neg_lo:[0,1] neg_hi:[0,1]
	v_pk_fma_f32 v[16:17], v[6:7], s[0:1], v[14:15]
	v_pk_fma_f32 v[24:25], v[6:7], s[0:1], v[14:15] neg_lo:[1,0,0] neg_hi:[1,0,0]
	s_mov_b32 s30, 0xbf7e222b
	v_mov_b32_e32 v24, v16
	v_mov_b32_e32 v52, v21
	;; [unrolled: 1-line block ×3, first 2 shown]
	s_mov_b32 s31, 0x3df6dbef
	v_pk_add_f32 v[0:1], v[58:59], v[56:57]
	v_pk_add_f32 v[22:23], v[58:59], v[56:57] neg_lo:[0,1] neg_hi:[0,1]
	v_pk_add_f32 v[24:25], v[24:25], v[18:19]
	v_pk_mul_f32 v[18:19], v[52:53], s[30:31]
	v_mov_b32_e32 v5, v20
	s_mov_b32 s2, s31
	s_mov_b32 s3, s30
	;; [unrolled: 1-line block ×3, first 2 shown]
	v_pk_fma_f32 v[20:21], v[4:5], s[2:3], v[18:19]
	v_pk_fma_f32 v[26:27], v[4:5], s[2:3], v[18:19] neg_lo:[1,0,0] neg_hi:[1,0,0]
	v_mov_b32_e32 v64, v23
	v_mov_b32_e32 v65, v1
	s_mov_b32 s17, 0xbeb58ec6
	v_mov_b32_e32 v26, v20
	v_mov_b32_e32 v1, v22
	v_pk_mul_f32 v[22:23], v[64:65], s[16:17]
	s_mov_b32 s12, s17
	s_mov_b32 s13, s16
	v_pk_add_f32 v[26:27], v[26:27], v[24:25]
	v_pk_fma_f32 v[24:25], v[0:1], s[12:13], v[22:23]
	v_pk_fma_f32 v[28:29], v[0:1], s[12:13], v[22:23] neg_lo:[1,0,0] neg_hi:[1,0,0]
	s_mov_b32 s26, 0xbf29c268
	v_mov_b32_e32 v28, v24
	v_pk_add_f32 v[32:33], v[28:29], v[26:27]
	v_pk_add_f32 v[26:27], v[54:55], v[66:67]
	v_pk_add_f32 v[28:29], v[54:55], v[66:67] neg_lo:[0,1] neg_hi:[0,1]
	v_pk_add_f32 v[72:73], v[72:73], v[2:3]
	v_mov_b32_e32 v74, v29
	v_mov_b32_e32 v75, v27
	s_mov_b32 s27, 0xbf3f9e67
	v_pk_add_f32 v[70:71], v[70:71], v[72:73]
	v_mov_b32_e32 v27, v28
	s_mov_b32 s6, s27
	s_mov_b32 s7, s26
	v_pk_mul_f32 v[30:31], v[74:75], s[26:27]
	v_pk_add_f32 v[68:69], v[68:69], v[70:71]
	v_pk_fma_f32 v[28:29], v[26:27], s[6:7], v[30:31]
	v_pk_fma_f32 v[38:39], v[26:27], s[6:7], v[30:31] neg_lo:[1,0,0] neg_hi:[1,0,0]
	v_pk_add_f32 v[58:59], v[58:59], v[68:69]
	v_mov_b32_e32 v38, v28
	v_pk_add_f32 v[54:55], v[54:55], v[58:59]
	v_pk_add_f32 v[78:79], v[38:39], v[32:33]
	;; [unrolled: 1-line block ×3, first 2 shown]
	v_pk_add_f32 v[38:39], v[48:49], v[44:45] neg_lo:[0,1] neg_hi:[0,1]
	v_pk_add_f32 v[48:49], v[48:49], v[54:55]
	s_mov_b32 s28, 0xbe750f2a
	v_pk_add_f32 v[44:45], v[44:45], v[48:49]
	v_mov_b32_e32 v76, v39
	v_mov_b32_e32 v77, v33
	s_mov_b32 s29, 0xbf788fa5
	v_pk_add_f32 v[44:45], v[66:67], v[44:45]
	v_mov_b32_e32 v33, v38
	s_mov_b32 s8, s29
	s_mov_b32 s9, s28
	v_pk_mul_f32 v[40:41], v[76:77], s[28:29]
	v_pk_add_f32 v[44:45], v[56:57], v[44:45]
	v_pk_fma_f32 v[38:39], v[32:33], s[8:9], v[40:41]
	v_pk_fma_f32 v[80:81], v[32:33], s[8:9], v[40:41] neg_lo:[1,0,0] neg_hi:[1,0,0]
	v_pk_add_f32 v[44:45], v[60:61], v[44:45]
	v_mov_b32_e32 v80, v38
	s_movk_i32 s18, 0x68
	v_pk_add_f32 v[44:45], v[46:47], v[44:45]
	v_pk_add_f32 v[78:79], v[80:81], v[78:79]
	v_mad_u32_u24 v103, v102, s18, 0
	v_pk_add_f32 v[42:43], v[42:43], v[44:45]
	v_pk_mul_f32 v[44:45], v[50:51], s[24:25]
	ds_write2_b64 v103, v[42:43], v[78:79] offset1:1
	v_pk_fma_f32 v[42:43], v[8:9], s[0:1], v[44:45]
	v_pk_fma_f32 v[54:55], v[8:9], s[0:1], v[44:45] neg_lo:[1,0,0] neg_hi:[1,0,0]
	v_pk_mul_f32 v[48:49], v[62:63], s[16:17]
	v_mov_b32_e32 v54, v42
	v_pk_fma_f32 v[46:47], v[6:7], s[12:13], v[48:49]
	v_pk_fma_f32 v[56:57], v[6:7], s[12:13], v[48:49] neg_lo:[1,0,0] neg_hi:[1,0,0]
	v_pk_add_f32 v[54:55], v[54:55], v[2:3]
	v_mov_b32_e32 v56, v46
	v_pk_add_f32 v[58:59], v[56:57], v[54:55]
	v_pk_mul_f32 v[56:57], v[52:53], s[28:29]
	s_mov_b32 s46, 0x3f29c268
	v_pk_fma_f32 v[54:55], v[4:5], s[8:9], v[56:57]
	v_pk_fma_f32 v[60:61], v[4:5], s[8:9], v[56:57] neg_lo:[1,0,0] neg_hi:[1,0,0]
	s_mov_b32 s47, s27
	v_mov_b32_e32 v60, v54
	v_pk_add_f32 v[66:67], v[60:61], v[58:59]
	s_mov_b32 s18, s27
	s_mov_b32 s19, s46
	v_pk_mul_f32 v[60:61], v[64:65], s[46:47]
	s_mov_b32 s36, 0x3f7e222b
	v_pk_fma_f32 v[58:59], v[0:1], s[18:19], v[60:61]
	v_pk_fma_f32 v[68:69], v[0:1], s[18:19], v[60:61] neg_lo:[1,0,0] neg_hi:[1,0,0]
	s_mov_b32 s37, s31
	v_mov_b32_e32 v68, v58
	v_pk_add_f32 v[70:71], v[68:69], v[66:67]
	s_mov_b32 s20, s31
	s_mov_b32 s21, s36
	;; [unrolled: 9-line block ×3, first 2 shown]
	v_pk_mul_f32 v[72:73], v[76:77], s[38:39]
	v_pk_mul_f32 v[84:85], v[62:63], s[28:29]
	v_pk_fma_f32 v[70:71], v[32:33], s[22:23], v[72:73]
	v_pk_fma_f32 v[80:81], v[32:33], s[22:23], v[72:73] neg_lo:[1,0,0] neg_hi:[1,0,0]
	v_pk_fma_f32 v[82:83], v[6:7], s[8:9], v[84:85]
	v_mov_b32_e32 v80, v70
	v_pk_add_f32 v[104:105], v[80:81], v[78:79]
	v_pk_mul_f32 v[80:81], v[50:51], s[30:31]
	v_pk_fma_f32 v[88:89], v[6:7], s[8:9], v[84:85] neg_lo:[1,0,0] neg_hi:[1,0,0]
	v_pk_fma_f32 v[78:79], v[8:9], s[2:3], v[80:81]
	v_pk_fma_f32 v[86:87], v[8:9], s[2:3], v[80:81] neg_lo:[1,0,0] neg_hi:[1,0,0]
	v_mov_b32_e32 v88, v82
	v_mov_b32_e32 v86, v78
	v_pk_add_f32 v[86:87], v[86:87], v[2:3]
	s_mov_b32 s54, 0x3f6f5d39
	s_mov_b32 s55, s17
	v_pk_add_f32 v[90:91], v[88:89], v[86:87]
	s_mov_b32 s34, s17
	s_mov_b32 s35, s54
	v_pk_mul_f32 v[88:89], v[52:53], s[54:55]
	v_pk_mul_f32 v[110:111], v[62:63], s[46:47]
	v_pk_fma_f32 v[86:87], v[4:5], s[34:35], v[88:89]
	v_pk_fma_f32 v[92:93], v[4:5], s[34:35], v[88:89] neg_lo:[1,0,0] neg_hi:[1,0,0]
	v_pk_fma_f32 v[112:113], v[6:7], s[18:19], v[110:111]
	v_mov_b32_e32 v92, v86
	v_pk_add_f32 v[94:95], v[92:93], v[90:91]
	v_pk_mul_f32 v[92:93], v[64:65], s[38:39]
	v_pk_fma_f32 v[114:115], v[6:7], s[18:19], v[110:111] neg_lo:[1,0,0] neg_hi:[1,0,0]
	v_pk_fma_f32 v[90:91], v[0:1], s[22:23], v[92:93]
	v_pk_fma_f32 v[96:97], v[0:1], s[22:23], v[92:93] neg_lo:[1,0,0] neg_hi:[1,0,0]
	v_mov_b32_e32 v114, v112
	v_mov_b32_e32 v96, v90
	v_pk_add_f32 v[98:99], v[96:97], v[94:95]
	v_pk_mul_f32 v[96:97], v[74:75], s[24:25]
	s_mov_b32 s52, 0x3e750f2a
	v_pk_fma_f32 v[94:95], v[26:27], s[0:1], v[96:97]
	v_pk_fma_f32 v[100:101], v[26:27], s[0:1], v[96:97] neg_lo:[1,0,0] neg_hi:[1,0,0]
	s_mov_b32 s53, s29
	v_mov_b32_e32 v100, v94
	v_pk_add_f32 v[106:107], v[100:101], v[98:99]
	v_pk_mul_f32 v[100:101], v[76:77], s[26:27]
	s_mov_b32 s40, s29
	v_pk_fma_f32 v[98:99], v[32:33], s[6:7], v[100:101]
	v_pk_fma_f32 v[108:109], v[32:33], s[6:7], v[100:101] neg_lo:[1,0,0] neg_hi:[1,0,0]
	s_mov_b32 s41, s52
	v_mov_b32_e32 v108, v98
	v_pk_add_f32 v[106:107], v[108:109], v[106:107]
	ds_write2_b64 v103, v[104:105], v[106:107] offset0:2 offset1:3
	v_pk_mul_f32 v[104:105], v[50:51], s[16:17]
	s_mov_b32 s50, 0x3f52af12
	v_pk_fma_f32 v[106:107], v[8:9], s[12:13], v[104:105]
	v_pk_fma_f32 v[108:109], v[8:9], s[12:13], v[104:105] neg_lo:[1,0,0] neg_hi:[1,0,0]
	s_mov_b32 s51, s25
	v_mov_b32_e32 v108, v106
	v_pk_add_f32 v[108:109], v[108:109], v[2:3]
	s_mov_b32 s42, s25
	v_pk_add_f32 v[108:109], v[114:115], v[108:109]
	v_pk_mul_f32 v[114:115], v[52:53], s[38:39]
	s_mov_b32 s43, s50
	v_pk_fma_f32 v[116:117], v[4:5], s[22:23], v[114:115]
	v_pk_fma_f32 v[118:119], v[4:5], s[22:23], v[114:115] neg_lo:[1,0,0] neg_hi:[1,0,0]
	v_pk_mul_f32 v[136:137], v[62:63], s[36:37]
	v_mov_b32_e32 v118, v116
	v_pk_add_f32 v[108:109], v[118:119], v[108:109]
	v_pk_mul_f32 v[118:119], v[64:65], s[30:31]
	v_pk_fma_f32 v[138:139], v[6:7], s[20:21], v[136:137]
	v_pk_fma_f32 v[120:121], v[0:1], s[2:3], v[118:119]
	v_pk_fma_f32 v[122:123], v[0:1], s[2:3], v[118:119] neg_lo:[1,0,0] neg_hi:[1,0,0]
	v_pk_fma_f32 v[140:141], v[6:7], s[20:21], v[136:137] neg_lo:[1,0,0] neg_hi:[1,0,0]
	v_mov_b32_e32 v122, v120
	v_pk_add_f32 v[108:109], v[122:123], v[108:109]
	v_pk_mul_f32 v[122:123], v[74:75], s[52:53]
	v_mov_b32_e32 v140, v138
	v_pk_fma_f32 v[124:125], v[26:27], s[40:41], v[122:123]
	v_pk_fma_f32 v[126:127], v[26:27], s[40:41], v[122:123] neg_lo:[1,0,0] neg_hi:[1,0,0]
	v_pk_mul_f32 v[62:63], v[62:63], s[38:39]
	v_mov_b32_e32 v126, v124
	v_pk_add_f32 v[108:109], v[126:127], v[108:109]
	v_pk_mul_f32 v[126:127], v[76:77], s[50:51]
	v_pk_fma_f32 v[158:159], v[6:7], s[22:23], v[62:63] neg_lo:[1,0,0] neg_hi:[1,0,0]
	v_pk_fma_f32 v[128:129], v[32:33], s[42:43], v[126:127]
	v_pk_fma_f32 v[130:131], v[32:33], s[42:43], v[126:127] neg_lo:[1,0,0] neg_hi:[1,0,0]
	v_pk_fma_f32 v[44:45], v[8:9], s[0:1], v[44:45] neg_lo:[0,0,1] neg_hi:[0,0,1]
	v_mov_b32_e32 v130, v128
	v_pk_add_f32 v[108:109], v[130:131], v[108:109]
	v_pk_mul_f32 v[130:131], v[50:51], s[26:27]
	v_pk_mul_f32 v[50:51], v[50:51], s[28:29]
	v_pk_fma_f32 v[132:133], v[8:9], s[6:7], v[130:131]
	v_pk_fma_f32 v[134:135], v[8:9], s[6:7], v[130:131] neg_lo:[1,0,0] neg_hi:[1,0,0]
	v_mov_b32_e32 v45, v43
	v_mov_b32_e32 v134, v132
	v_pk_add_f32 v[134:135], v[134:135], v[2:3]
	v_pk_fma_f32 v[42:43], v[6:7], s[12:13], v[48:49] neg_lo:[0,0,1] neg_hi:[0,0,1]
	v_pk_add_f32 v[134:135], v[140:141], v[134:135]
	v_pk_mul_f32 v[140:141], v[52:53], s[24:25]
	v_pk_mul_f32 v[52:53], v[52:53], s[26:27]
	v_pk_fma_f32 v[142:143], v[4:5], s[0:1], v[140:141]
	v_pk_fma_f32 v[144:145], v[4:5], s[0:1], v[140:141] neg_lo:[1,0,0] neg_hi:[1,0,0]
	v_pk_fma_f32 v[160:161], v[4:5], s[6:7], v[52:53] neg_lo:[1,0,0] neg_hi:[1,0,0]
	v_mov_b32_e32 v144, v142
	v_pk_add_f32 v[134:135], v[144:145], v[134:135]
	v_pk_mul_f32 v[144:145], v[64:65], s[52:53]
	v_pk_mul_f32 v[64:65], v[64:65], s[50:51]
	v_pk_fma_f32 v[146:147], v[0:1], s[40:41], v[144:145]
	v_pk_fma_f32 v[148:149], v[0:1], s[40:41], v[144:145] neg_lo:[1,0,0] neg_hi:[1,0,0]
	v_pk_fma_f32 v[162:163], v[0:1], s[42:43], v[64:65] neg_lo:[1,0,0] neg_hi:[1,0,0]
	v_mov_b32_e32 v148, v146
	;; [unrolled: 7-line block ×4, first 2 shown]
	v_pk_add_f32 v[134:135], v[156:157], v[134:135]
	ds_write2_b64 v103, v[108:109], v[134:135] offset0:4 offset1:5
	v_pk_fma_f32 v[108:109], v[8:9], s[8:9], v[50:51]
	v_pk_fma_f32 v[134:135], v[8:9], s[8:9], v[50:51] neg_lo:[1,0,0] neg_hi:[1,0,0]
	v_pk_fma_f32 v[156:157], v[6:7], s[22:23], v[62:63]
	v_mov_b32_e32 v134, v108
	v_mov_b32_e32 v158, v156
	v_pk_add_f32 v[134:135], v[134:135], v[2:3]
	v_pk_fma_f32 v[50:51], v[8:9], s[8:9], v[50:51] neg_lo:[0,0,1] neg_hi:[0,0,1]
	v_pk_add_f32 v[134:135], v[158:159], v[134:135]
	v_pk_fma_f32 v[158:159], v[4:5], s[6:7], v[52:53]
	v_mov_b32_e32 v51, v109
	v_mov_b32_e32 v160, v158
	v_pk_add_f32 v[134:135], v[160:161], v[134:135]
	v_pk_fma_f32 v[160:161], v[0:1], s[42:43], v[64:65]
	v_pk_fma_f32 v[62:63], v[6:7], s[22:23], v[62:63] neg_lo:[0,0,1] neg_hi:[0,0,1]
	v_mov_b32_e32 v162, v160
	v_mov_b32_e32 v63, v157
	v_pk_fma_f32 v[52:53], v[4:5], s[6:7], v[52:53] neg_lo:[0,0,1] neg_hi:[0,0,1]
	v_pk_add_f32 v[50:51], v[50:51], v[2:3]
	v_pk_add_f32 v[134:135], v[162:163], v[134:135]
	v_pk_fma_f32 v[162:163], v[26:27], s[12:13], v[74:75]
	v_mov_b32_e32 v53, v159
	v_pk_fma_f32 v[64:65], v[0:1], s[42:43], v[64:65] neg_lo:[0,0,1] neg_hi:[0,0,1]
	v_pk_add_f32 v[50:51], v[62:63], v[50:51]
	v_mov_b32_e32 v164, v162
	v_mov_b32_e32 v65, v161
	v_pk_fma_f32 v[74:75], v[26:27], s[12:13], v[74:75] neg_lo:[0,0,1] neg_hi:[0,0,1]
	v_pk_add_f32 v[50:51], v[52:53], v[50:51]
	v_pk_add_f32 v[134:135], v[164:165], v[134:135]
	v_pk_fma_f32 v[164:165], v[32:33], s[20:21], v[76:77]
	v_mov_b32_e32 v75, v163
	v_pk_fma_f32 v[76:77], v[32:33], s[20:21], v[76:77] neg_lo:[0,0,1] neg_hi:[0,0,1]
	v_pk_add_f32 v[50:51], v[64:65], v[50:51]
	v_mov_b32_e32 v166, v164
	v_mov_b32_e32 v77, v165
	v_pk_add_f32 v[50:51], v[74:75], v[50:51]
	v_pk_add_f32 v[134:135], v[166:167], v[134:135]
	;; [unrolled: 1-line block ×3, first 2 shown]
	ds_write2_b64 v103, v[134:135], v[50:51] offset0:6 offset1:7
	v_pk_fma_f32 v[50:51], v[8:9], s[6:7], v[130:131] neg_lo:[0,0,1] neg_hi:[0,0,1]
	v_pk_fma_f32 v[52:53], v[6:7], s[20:21], v[136:137] neg_lo:[0,0,1] neg_hi:[0,0,1]
	v_mov_b32_e32 v51, v133
	v_mov_b32_e32 v53, v139
	v_pk_fma_f32 v[62:63], v[4:5], s[0:1], v[140:141] neg_lo:[0,0,1] neg_hi:[0,0,1]
	v_pk_add_f32 v[50:51], v[50:51], v[2:3]
	v_mov_b32_e32 v63, v143
	v_pk_fma_f32 v[64:65], v[0:1], s[40:41], v[144:145] neg_lo:[0,0,1] neg_hi:[0,0,1]
	v_pk_add_f32 v[50:51], v[52:53], v[50:51]
	v_pk_fma_f32 v[52:53], v[8:9], s[12:13], v[104:105] neg_lo:[0,0,1] neg_hi:[0,0,1]
	v_mov_b32_e32 v65, v147
	v_pk_fma_f32 v[74:75], v[26:27], s[22:23], v[148:149] neg_lo:[0,0,1] neg_hi:[0,0,1]
	v_pk_add_f32 v[50:51], v[62:63], v[50:51]
	v_mov_b32_e32 v53, v107
	v_pk_fma_f32 v[62:63], v[6:7], s[18:19], v[110:111] neg_lo:[0,0,1] neg_hi:[0,0,1]
	v_mov_b32_e32 v75, v151
	v_pk_fma_f32 v[76:77], v[32:33], s[12:13], v[152:153] neg_lo:[0,0,1] neg_hi:[0,0,1]
	v_pk_add_f32 v[50:51], v[64:65], v[50:51]
	v_mov_b32_e32 v63, v113
	v_pk_fma_f32 v[64:65], v[4:5], s[22:23], v[114:115] neg_lo:[0,0,1] neg_hi:[0,0,1]
	v_pk_add_f32 v[52:53], v[52:53], v[2:3]
	v_mov_b32_e32 v77, v155
	v_pk_add_f32 v[50:51], v[74:75], v[50:51]
	v_mov_b32_e32 v65, v117
	v_pk_fma_f32 v[74:75], v[0:1], s[2:3], v[118:119] neg_lo:[0,0,1] neg_hi:[0,0,1]
	v_pk_add_f32 v[52:53], v[62:63], v[52:53]
	v_pk_add_f32 v[50:51], v[76:77], v[50:51]
	v_mov_b32_e32 v75, v121
	v_pk_fma_f32 v[76:77], v[26:27], s[40:41], v[122:123] neg_lo:[0,0,1] neg_hi:[0,0,1]
	v_pk_add_f32 v[52:53], v[64:65], v[52:53]
	v_mov_b32_e32 v77, v125
	v_pk_fma_f32 v[104:105], v[32:33], s[42:43], v[126:127] neg_lo:[0,0,1] neg_hi:[0,0,1]
	v_pk_add_f32 v[52:53], v[74:75], v[52:53]
	v_mov_b32_e32 v105, v129
	v_pk_add_f32 v[52:53], v[76:77], v[52:53]
	v_pk_fma_f32 v[62:63], v[4:5], s[34:35], v[88:89] neg_lo:[0,0,1] neg_hi:[0,0,1]
	v_pk_add_f32 v[52:53], v[104:105], v[52:53]
	ds_write2_b64 v103, v[50:51], v[52:53] offset0:8 offset1:9
	v_pk_fma_f32 v[50:51], v[8:9], s[2:3], v[80:81] neg_lo:[0,0,1] neg_hi:[0,0,1]
	v_pk_fma_f32 v[8:9], v[8:9], s[48:49], v[10:11] neg_lo:[0,0,1] neg_hi:[0,0,1]
	v_mov_b32_e32 v51, v79
	v_pk_fma_f32 v[52:53], v[6:7], s[8:9], v[84:85] neg_lo:[0,0,1] neg_hi:[0,0,1]
	v_mov_b32_e32 v9, v13
	v_pk_fma_f32 v[6:7], v[6:7], s[0:1], v[14:15] neg_lo:[0,0,1] neg_hi:[0,0,1]
	v_pk_add_f32 v[50:51], v[50:51], v[2:3]
	v_mov_b32_e32 v43, v47
	v_pk_fma_f32 v[46:47], v[4:5], s[8:9], v[56:57] neg_lo:[0,0,1] neg_hi:[0,0,1]
	v_pk_add_f32 v[44:45], v[44:45], v[2:3]
	v_pk_add_f32 v[2:3], v[8:9], v[2:3]
	v_mov_b32_e32 v7, v17
	v_pk_fma_f32 v[4:5], v[4:5], s[2:3], v[18:19] neg_lo:[0,0,1] neg_hi:[0,0,1]
	v_pk_fma_f32 v[64:65], v[0:1], s[22:23], v[92:93] neg_lo:[0,0,1] neg_hi:[0,0,1]
	;; [unrolled: 1-line block ×3, first 2 shown]
	v_pk_add_f32 v[2:3], v[6:7], v[2:3]
	v_mov_b32_e32 v5, v21
	v_pk_fma_f32 v[0:1], v[0:1], s[12:13], v[22:23] neg_lo:[0,0,1] neg_hi:[0,0,1]
	v_pk_add_f32 v[2:3], v[4:5], v[2:3]
	v_mov_b32_e32 v1, v25
	v_pk_add_f32 v[0:1], v[0:1], v[2:3]
	v_pk_fma_f32 v[2:3], v[26:27], s[6:7], v[30:31] neg_lo:[0,0,1] neg_hi:[0,0,1]
	s_movk_i32 s33, 0x4f
	v_mov_b32_e32 v3, v29
	v_pk_add_f32 v[0:1], v[2:3], v[0:1]
	v_pk_fma_f32 v[2:3], v[32:33], s[8:9], v[40:41] neg_lo:[0,0,1] neg_hi:[0,0,1]
	v_mov_b32_e32 v53, v83
	v_mov_b32_e32 v3, v39
	v_pk_add_f32 v[0:1], v[2:3], v[0:1]
	ds_write_b64 v103, v[0:1] offset:96
	v_mul_lo_u16_sdwa v0, v102, s33 dst_sel:DWORD dst_unused:UNUSED_PAD src0_sel:BYTE_0 src1_sel:DWORD
	v_mov_b32_e32 v63, v87
	v_pk_add_f32 v[50:51], v[52:53], v[50:51]
	v_mov_b32_e32 v47, v55
	v_pk_fma_f32 v[54:55], v[32:33], s[22:23], v[72:73] neg_lo:[0,0,1] neg_hi:[0,0,1]
	v_pk_add_f32 v[42:43], v[42:43], v[44:45]
	v_lshrrev_b16_e32 v72, 10, v0
	v_mov_b32_e32 v65, v91
	v_pk_fma_f32 v[74:75], v[26:27], s[0:1], v[96:97] neg_lo:[0,0,1] neg_hi:[0,0,1]
	v_pk_add_f32 v[50:51], v[62:63], v[50:51]
	v_mov_b32_e32 v49, v59
	v_pk_fma_f32 v[52:53], v[26:27], s[20:21], v[68:69] neg_lo:[0,0,1] neg_hi:[0,0,1]
	v_pk_add_f32 v[42:43], v[46:47], v[42:43]
	v_mul_lo_u16_e32 v0, 13, v72
	v_mov_b32_e32 v75, v95
	v_pk_fma_f32 v[76:77], v[32:33], s[6:7], v[100:101] neg_lo:[0,0,1] neg_hi:[0,0,1]
	v_pk_add_f32 v[50:51], v[64:65], v[50:51]
	v_mov_b32_e32 v53, v67
	v_pk_add_f32 v[42:43], v[48:49], v[42:43]
	v_sub_u16_e32 v73, v102, v0
	v_mov_b32_e32 v0, 12
	v_mov_b32_e32 v77, v99
	v_pk_add_f32 v[50:51], v[74:75], v[50:51]
	v_mov_b32_e32 v55, v71
	v_pk_add_f32 v[42:43], v[52:53], v[42:43]
	v_mul_u32_u24_sdwa v0, v73, v0 dst_sel:DWORD dst_unused:UNUSED_PAD src0_sel:BYTE_0 src1_sel:DWORD
	v_pk_add_f32 v[50:51], v[76:77], v[50:51]
	v_pk_add_f32 v[42:43], v[54:55], v[42:43]
	v_lshlrev_b32_e32 v20, 3, v0
	s_load_dwordx2 s[44:45], s[44:45], 0x0
	ds_write2_b64 v103, v[50:51], v[42:43] offset0:10 offset1:11
	s_waitcnt lgkmcnt(0)
	; wave barrier
	s_waitcnt lgkmcnt(0)
	global_load_dwordx4 v[4:7], v20, s[4:5] offset:16
	global_load_dwordx4 v[0:3], v20, s[4:5] offset:32
	;; [unrolled: 1-line block ×5, first 2 shown]
	s_nop 0
	global_load_dwordx4 v[20:23], v20, s[4:5]
	s_movk_i32 s33, 0xffa0
	v_mad_i32_i24 v83, v102, s33, v103
	v_add_u32_e32 v82, 0x400, v83
	ds_read2_b64 v[24:27], v82 offset0:80 offset1:132
	v_add_u32_e32 v85, 0x800, v83
	ds_read2_b64 v[28:31], v85 offset0:56 offset1:108
	ds_read2_b64 v[38:41], v85 offset0:160 offset1:212
	v_add_u32_e32 v84, 0x1000, v83
	ds_read2_b64 v[42:45], v84 offset0:8 offset1:60
	ds_read_b64 v[32:33], v83 offset:4992
	s_mov_b32 s56, s17
	s_waitcnt vmcnt(5)
	v_mov_b32_e32 v46, v7
	v_mov_b32_e32 v47, v6
	s_waitcnt lgkmcnt(4)
	v_pk_mul_f32 v[6:7], v[6:7], v[24:25] op_sel_hi:[1,0]
	s_nop 0
	v_pk_fma_f32 v[48:49], v[46:47], v[24:25], v[6:7] op_sel:[0,1,0]
	v_pk_fma_f32 v[24:25], v[46:47], v[24:25], v[6:7] op_sel:[0,1,0] neg_lo:[0,0,1] neg_hi:[0,0,1]
	s_waitcnt vmcnt(4)
	v_pk_mul_f32 v[6:7], v[26:27], v[0:1] op_sel:[0,1]
	s_nop 0
	v_pk_fma_f32 v[46:47], v[26:27], v[0:1], v[6:7] op_sel:[0,0,1] op_sel_hi:[1,0,0]
	v_pk_fma_f32 v[26:27], v[26:27], v[0:1], v[6:7] op_sel:[0,0,1] op_sel_hi:[1,0,0] neg_lo:[0,0,1] neg_hi:[0,0,1]
	v_mov_b32_e32 v0, v3
	s_waitcnt lgkmcnt(3)
	v_pk_mul_f32 v[0:1], v[28:29], v[0:1] op_sel_hi:[1,0]
	s_nop 0
	v_pk_fma_f32 v[50:51], v[28:29], v[2:3], v[0:1] op_sel:[0,0,1] op_sel_hi:[1,0,0]
	v_pk_fma_f32 v[28:29], v[28:29], v[2:3], v[0:1] op_sel:[0,0,1] op_sel_hi:[1,0,0] neg_lo:[0,0,1] neg_hi:[0,0,1]
	s_waitcnt vmcnt(3)
	v_pk_mul_f32 v[0:1], v[30:31], v[8:9] op_sel:[0,1]
	s_nop 0
	v_pk_fma_f32 v[52:53], v[30:31], v[8:9], v[0:1] op_sel:[0,0,1] op_sel_hi:[1,0,0]
	v_pk_fma_f32 v[30:31], v[30:31], v[8:9], v[0:1] op_sel:[0,0,1] op_sel_hi:[1,0,0] neg_lo:[0,0,1] neg_hi:[0,0,1]
	v_mov_b32_e32 v0, v11
	s_waitcnt lgkmcnt(2)
	v_pk_mul_f32 v[0:1], v[38:39], v[0:1] op_sel_hi:[1,0]
	ds_read2_b64 v[6:9], v83 offset0:104 offset1:156
	v_pk_fma_f32 v[54:55], v[38:39], v[10:11], v[0:1] op_sel:[0,0,1] op_sel_hi:[1,0,0]
	v_pk_fma_f32 v[10:11], v[38:39], v[10:11], v[0:1] op_sel:[0,0,1] op_sel_hi:[1,0,0] neg_lo:[0,0,1] neg_hi:[0,0,1]
	s_waitcnt vmcnt(2)
	v_pk_mul_f32 v[0:1], v[40:41], v[12:13] op_sel:[0,1]
	s_nop 0
	v_pk_fma_f32 v[38:39], v[40:41], v[12:13], v[0:1] op_sel:[0,0,1] op_sel_hi:[1,0,0]
	v_pk_fma_f32 v[12:13], v[40:41], v[12:13], v[0:1] op_sel:[0,0,1] op_sel_hi:[1,0,0] neg_lo:[0,0,1] neg_hi:[0,0,1]
	v_mov_b32_e32 v0, v15
	s_waitcnt lgkmcnt(2)
	v_pk_mul_f32 v[0:1], v[42:43], v[0:1] op_sel_hi:[1,0]
	s_nop 0
	v_pk_fma_f32 v[40:41], v[42:43], v[14:15], v[0:1] op_sel:[0,0,1] op_sel_hi:[1,0,0]
	v_pk_fma_f32 v[14:15], v[42:43], v[14:15], v[0:1] op_sel:[0,0,1] op_sel_hi:[1,0,0] neg_lo:[0,0,1] neg_hi:[0,0,1]
	s_waitcnt vmcnt(1)
	v_pk_mul_f32 v[0:1], v[44:45], v[16:17] op_sel:[0,1]
	v_mov_b32_e32 v67, v15
	v_pk_fma_f32 v[42:43], v[44:45], v[16:17], v[0:1] op_sel:[0,0,1] op_sel_hi:[1,1,0]
	v_pk_fma_f32 v[16:17], v[44:45], v[16:17], v[0:1] op_sel:[0,0,1] op_sel_hi:[1,0,0] neg_lo:[0,0,1] neg_hi:[0,0,1]
	v_mov_b32_e32 v0, v19
	s_waitcnt lgkmcnt(1)
	v_pk_mul_f32 v[0:1], v[32:33], v[0:1] op_sel_hi:[1,0]
	v_mov_b32_e32 v43, v17
	v_pk_fma_f32 v[44:45], v[32:33], v[18:19], v[0:1] op_sel:[0,0,1] op_sel_hi:[1,1,0]
	v_pk_fma_f32 v[18:19], v[32:33], v[18:19], v[0:1] op_sel:[0,0,1] op_sel_hi:[1,0,0] neg_lo:[0,0,1] neg_hi:[0,0,1]
	ds_read2_b64 v[0:3], v83 offset1:52
	s_waitcnt lgkmcnt(1)
	v_mul_f32_e32 v32, v5, v9
	v_mul_f32_e32 v5, v5, v8
	v_fmac_f32_e32 v32, v4, v8
	v_fma_f32 v8, v4, v9, -v5
	s_waitcnt vmcnt(0)
	v_pk_mul_f32 v[4:5], v[22:23], v[6:7] op_sel:[0,1]
	v_mov_b32_e32 v33, v8
	v_pk_fma_f32 v[56:57], v[22:23], v[6:7], v[4:5] op_sel:[0,0,1] op_sel_hi:[1,1,0]
	v_pk_fma_f32 v[58:59], v[22:23], v[6:7], v[4:5] op_sel:[0,0,1] op_sel_hi:[1,0,0] neg_lo:[1,0,0] neg_hi:[1,0,0]
	s_waitcnt lgkmcnt(0)
	v_mov_b32_e32 v4, v3
	v_pk_mul_f32 v[6:7], v[20:21], v[2:3] op_sel_hi:[1,0]
	v_mov_b32_e32 v45, v19
	v_pk_fma_f32 v[60:61], v[20:21], v[4:5], v[6:7] op_sel:[1,0,0] op_sel_hi:[0,1,1]
	v_pk_fma_f32 v[62:63], v[20:21], v[2:3], v[6:7] op_sel:[1,1,0] op_sel_hi:[0,1,1] neg_lo:[0,0,1] neg_hi:[0,0,1]
	v_pk_add_f32 v[4:5], v[32:33], v[40:41]
	v_pk_add_f32 v[2:3], v[32:33], v[40:41] neg_lo:[0,1] neg_hi:[0,1]
	v_pk_add_f32 v[18:19], v[8:9], v[14:15] op_sel_hi:[0,1]
	v_mov_b32_e32 v5, v2
	v_pk_add_f32 v[2:3], v[8:9], v[14:15] op_sel:[0,1] neg_lo:[0,1] neg_hi:[0,1]
	v_pk_add_f32 v[6:7], v[48:49], v[38:39]
	v_pk_add_f32 v[8:9], v[48:49], v[38:39] neg_lo:[0,1] neg_hi:[0,1]
	v_mov_b32_e32 v39, v13
	v_mov_b32_e32 v7, v8
	v_pk_add_f32 v[14:15], v[24:25], v[12:13] neg_lo:[0,1] neg_hi:[0,1]
	v_pk_add_f32 v[20:21], v[24:25], v[12:13]
	v_pk_add_f32 v[8:9], v[46:47], v[54:55]
	v_pk_add_f32 v[12:13], v[46:47], v[54:55] neg_lo:[0,1] neg_hi:[0,1]
	v_mov_b32_e32 v55, v11
	v_mov_b32_e32 v9, v12
	v_pk_add_f32 v[12:13], v[26:27], v[10:11] neg_lo:[0,1] neg_hi:[0,1]
	v_pk_add_f32 v[22:23], v[26:27], v[10:11]
	v_pk_add_f32 v[10:11], v[50:51], v[52:53]
	v_pk_add_f32 v[16:17], v[50:51], v[52:53] neg_lo:[0,1] neg_hi:[0,1]
	v_mov_b32_e32 v18, v2
	v_mov_b32_e32 v11, v16
	v_pk_mul_f32 v[16:17], v[4:5], s[2:3]
	v_mov_b32_e32 v49, v25
	v_mov_b32_e32 v47, v27
	;; [unrolled: 1-line block ×3, first 2 shown]
	v_pk_add_f32 v[24:25], v[28:29], v[30:31] neg_lo:[0,1] neg_hi:[0,1]
	v_pk_add_f32 v[26:27], v[28:29], v[30:31]
	v_pk_fma_f32 v[2:3], v[2:3], s[30:31], v[16:17] neg_lo:[1,0,0] neg_hi:[1,0,0]
	v_pk_fma_f32 v[28:29], v[18:19], s[30:31], v[16:17]
	v_pk_fma_f32 v[16:17], v[18:19], s[30:31], v[16:17] neg_lo:[0,0,1] neg_hi:[0,0,1]
	v_mov_b32_e32 v3, v29
	v_mov_b32_e32 v29, v17
	;; [unrolled: 1-line block ×3, first 2 shown]
	v_pk_mul_f32 v[16:17], v[6:7], s[12:13]
	v_mov_b32_e32 v66, v40
	v_mov_b32_e32 v53, v31
	v_pk_fma_f32 v[14:15], v[14:15], s[16:17], v[16:17] op_sel:[1,0,0] neg_lo:[1,0,0] neg_hi:[1,0,0]
	v_pk_fma_f32 v[30:31], v[20:21], s[16:17], v[16:17]
	v_pk_fma_f32 v[16:17], v[20:21], s[16:17], v[16:17] neg_lo:[0,0,1] neg_hi:[0,0,1]
	v_mov_b32_e32 v22, v13
	v_pk_mul_f32 v[40:41], v[8:9], s[6:7]
	v_mov_b32_e32 v15, v31
	v_mov_b32_e32 v31, v17
	v_pk_fma_f32 v[16:17], v[12:13], s[26:27], v[40:41] op_sel:[1,0,0] neg_lo:[1,0,0] neg_hi:[1,0,0]
	v_pk_fma_f32 v[68:69], v[22:23], s[26:27], v[40:41]
	v_pk_fma_f32 v[12:13], v[22:23], s[26:27], v[40:41] neg_lo:[0,0,1] neg_hi:[0,0,1]
	v_mov_b32_e32 v26, v25
	;; [unrolled: 7-line block ×3, first 2 shown]
	v_mov_b32_e32 v13, v71
	v_mov_b32_e32 v71, v25
	;; [unrolled: 1-line block ×3, first 2 shown]
	v_pk_add_f32 v[24:25], v[60:61], v[0:1]
	v_pk_add_f32 v[62:63], v[60:61], v[44:45]
	;; [unrolled: 1-line block ×3, first 2 shown]
	v_pk_add_f32 v[64:65], v[60:61], v[44:45] neg_lo:[0,1] neg_hi:[0,1]
	v_pk_add_f32 v[24:25], v[24:25], v[32:33]
	v_pk_add_f32 v[58:59], v[56:57], v[42:43]
	;; [unrolled: 1-line block ×3, first 2 shown]
	v_pk_add_f32 v[60:61], v[56:57], v[42:43] neg_lo:[0,1] neg_hi:[0,1]
	v_pk_add_f32 v[24:25], v[24:25], v[46:47]
	s_nop 0
	v_pk_add_f32 v[24:25], v[24:25], v[50:51]
	; wave barrier
	s_nop 0
	v_pk_add_f32 v[24:25], v[24:25], v[52:53]
	v_pk_mul_f32 v[100:101], v[60:61], s[46:47] op_sel_hi:[1,0]
	v_pk_add_f32 v[24:25], v[24:25], v[54:55]
	v_pk_mul_f32 v[128:129], v[60:61], s[36:37] op_sel_hi:[1,0]
	v_pk_add_f32 v[24:25], v[24:25], v[38:39]
	v_mov_b32_e32 v38, v65
	v_pk_add_f32 v[24:25], v[24:25], v[66:67]
	v_mov_b32_e32 v39, v63
	v_pk_add_f32 v[24:25], v[24:25], v[42:43]
	s_nop 0
	v_pk_add_f32 v[32:33], v[24:25], v[44:45]
	v_mov_b32_e32 v24, v62
	v_mov_b32_e32 v25, v64
	v_pk_mul_f32 v[40:41], v[24:25], s[48:49]
	s_mov_b32 s48, s31
	v_pk_fma_f32 v[24:25], v[38:39], s[14:15], v[40:41] neg_lo:[1,0,0] neg_hi:[1,0,0]
	v_pk_fma_f32 v[42:43], v[38:39], s[14:15], v[40:41]
	v_pk_fma_f32 v[38:39], v[38:39], s[14:15], v[40:41] neg_lo:[0,0,1] neg_hi:[0,0,1]
	v_mov_b32_e32 v40, v58
	v_mov_b32_e32 v41, v60
	;; [unrolled: 1-line block ×6, first 2 shown]
	v_pk_mul_f32 v[44:45], v[40:41], s[0:1]
	s_mov_b32 s14, s25
	v_pk_fma_f32 v[40:41], v[38:39], s[24:25], v[44:45] neg_lo:[1,0,0] neg_hi:[1,0,0]
	v_pk_fma_f32 v[46:47], v[38:39], s[24:25], v[44:45]
	v_pk_fma_f32 v[38:39], v[38:39], s[24:25], v[44:45] neg_lo:[0,0,1] neg_hi:[0,0,1]
	v_mov_b32_e32 v41, v47
	v_mov_b32_e32 v47, v39
	v_pk_add_f32 v[38:39], v[42:43], v[0:1]
	v_mov_b32_e32 v42, 3
	v_pk_add_f32 v[38:39], v[46:47], v[38:39]
	v_lshlrev_b32_sdwa v42, v42, v73 dst_sel:DWORD dst_unused:UNUSED_PAD src0_sel:DWORD src1_sel:BYTE_0
	v_mul_u32_u24_e32 v43, 0x548, v72
	v_pk_add_f32 v[28:29], v[28:29], v[38:39]
	v_add3_u32 v156, 0, v43, v42
	v_pk_mul_f32 v[38:39], v[64:65], s[24:25] op_sel_hi:[1,0]
	v_pk_add_f32 v[42:43], v[30:31], v[28:29]
	v_pk_fma_f32 v[30:31], v[62:63], s[14:15], v[38:39] op_sel:[0,0,1] op_sel_hi:[1,0,0]
	v_pk_fma_f32 v[28:29], v[62:63], s[14:15], v[38:39] op_sel:[0,0,1] op_sel_hi:[1,0,0] neg_lo:[0,0,1] neg_hi:[0,0,1]
	v_pk_add_f32 v[38:39], v[68:69], v[42:43]
	v_pk_mul_f32 v[44:45], v[60:61], s[16:17] op_sel_hi:[1,0]
	v_pk_add_f32 v[38:39], v[70:71], v[38:39]
	v_mov_b32_e32 v42, v30
	v_mov_b32_e32 v43, v29
	ds_write2_b64 v156, v[32:33], v[38:39] offset1:13
	v_pk_fma_f32 v[38:39], v[58:59], s[56:57], v[44:45] op_sel:[0,0,1] op_sel_hi:[1,0,0]
	v_pk_fma_f32 v[32:33], v[58:59], s[56:57], v[44:45] op_sel:[0,0,1] op_sel_hi:[1,0,0] neg_lo:[0,0,1] neg_hi:[0,0,1]
	v_mov_b32_e32 v44, v38
	v_mov_b32_e32 v45, v33
	v_pk_add_f32 v[42:43], v[42:43], v[0:1]
	s_mov_b32 s14, s29
	v_pk_add_f32 v[46:47], v[44:45], v[42:43]
	v_pk_mul_f32 v[44:45], v[18:19], s[28:29]
	v_pk_mul_f32 v[70:71], v[60:61], s[28:29] op_sel_hi:[1,0]
	v_pk_fma_f32 v[42:43], v[4:5], s[8:9], v[44:45]
	v_pk_fma_f32 v[48:49], v[4:5], s[8:9], v[44:45] neg_lo:[1,0,0] neg_hi:[1,0,0]
	v_pk_fma_f32 v[72:73], v[58:59], s[14:15], v[70:71] op_sel:[0,0,1] op_sel_hi:[1,0,0]
	v_mov_b32_e32 v48, v42
	v_pk_add_f32 v[50:51], v[48:49], v[46:47]
	v_pk_mul_f32 v[48:49], v[20:21], s[46:47]
	v_pk_fma_f32 v[70:71], v[58:59], s[14:15], v[70:71] op_sel:[0,0,1] op_sel_hi:[1,0,0] neg_lo:[0,0,1] neg_hi:[0,0,1]
	v_pk_fma_f32 v[46:47], v[6:7], s[18:19], v[48:49]
	v_pk_fma_f32 v[52:53], v[6:7], s[18:19], v[48:49] neg_lo:[1,0,0] neg_hi:[1,0,0]
	v_mov_b32_e32 v76, v72
	v_mov_b32_e32 v52, v46
	v_pk_add_f32 v[54:55], v[52:53], v[50:51]
	v_pk_mul_f32 v[52:53], v[22:23], s[36:37]
	v_mov_b32_e32 v77, v71
	v_pk_fma_f32 v[50:51], v[8:9], s[20:21], v[52:53]
	v_pk_fma_f32 v[56:57], v[8:9], s[20:21], v[52:53] neg_lo:[1,0,0] neg_hi:[1,0,0]
	v_pk_fma_f32 v[130:131], v[58:59], s[48:49], v[128:129] op_sel:[0,0,1] op_sel_hi:[1,0,0]
	v_mov_b32_e32 v56, v50
	v_pk_add_f32 v[66:67], v[56:57], v[54:55]
	v_pk_mul_f32 v[56:57], v[26:27], s[38:39]
	v_pk_fma_f32 v[128:129], v[58:59], s[48:49], v[128:129] op_sel:[0,0,1] op_sel_hi:[1,0,0] neg_lo:[0,0,1] neg_hi:[0,0,1]
	v_pk_fma_f32 v[54:55], v[10:11], s[22:23], v[56:57]
	v_pk_fma_f32 v[68:69], v[10:11], s[22:23], v[56:57] neg_lo:[1,0,0] neg_hi:[1,0,0]
	v_mov_b32_e32 v132, v130
	v_mov_b32_e32 v68, v54
	v_pk_add_f32 v[86:87], v[68:69], v[66:67]
	v_pk_mul_f32 v[66:67], v[64:65], s[30:31] op_sel_hi:[1,0]
	v_mov_b32_e32 v133, v129
	v_pk_fma_f32 v[68:69], v[62:63], s[48:49], v[66:67] op_sel:[0,0,1] op_sel_hi:[1,0,0]
	v_pk_fma_f32 v[66:67], v[62:63], s[48:49], v[66:67] op_sel:[0,0,1] op_sel_hi:[1,0,0] neg_lo:[0,0,1] neg_hi:[0,0,1]
	v_mov_b32_e32 v74, v68
	v_mov_b32_e32 v75, v67
	v_pk_add_f32 v[74:75], v[74:75], v[0:1]
	v_pk_mul_f32 v[60:61], v[60:61], s[38:39] op_sel_hi:[1,0]
	v_pk_add_f32 v[78:79], v[76:77], v[74:75]
	v_pk_mul_f32 v[76:77], v[18:19], s[54:55]
	s_mov_b32 s54, s27
	v_pk_fma_f32 v[74:75], v[4:5], s[34:35], v[76:77]
	v_pk_fma_f32 v[80:81], v[4:5], s[34:35], v[76:77] neg_lo:[1,0,0] neg_hi:[1,0,0]
	v_pk_fma_f32 v[104:105], v[58:59], s[54:55], v[100:101] op_sel:[0,0,1] op_sel_hi:[1,0,0]
	v_mov_b32_e32 v80, v74
	v_pk_add_f32 v[88:89], v[80:81], v[78:79]
	v_pk_mul_f32 v[80:81], v[20:21], s[38:39]
	v_pk_fma_f32 v[100:101], v[58:59], s[54:55], v[100:101] op_sel:[0,0,1] op_sel_hi:[1,0,0] neg_lo:[0,0,1] neg_hi:[0,0,1]
	v_pk_fma_f32 v[78:79], v[6:7], s[22:23], v[80:81]
	v_pk_fma_f32 v[90:91], v[6:7], s[22:23], v[80:81] neg_lo:[1,0,0] neg_hi:[1,0,0]
	v_mov_b32_e32 v106, v104
	v_mov_b32_e32 v90, v78
	v_pk_add_f32 v[88:89], v[90:91], v[88:89]
	v_pk_mul_f32 v[90:91], v[22:23], s[24:25]
	v_mov_b32_e32 v107, v101
	v_pk_fma_f32 v[92:93], v[8:9], s[0:1], v[90:91]
	v_pk_fma_f32 v[94:95], v[8:9], s[0:1], v[90:91] neg_lo:[1,0,0] neg_hi:[1,0,0]
	v_mov_b32_e32 v129, v131
	v_mov_b32_e32 v94, v92
	v_pk_add_f32 v[88:89], v[94:95], v[88:89]
	v_pk_mul_f32 v[94:95], v[26:27], s[26:27]
	v_mov_b32_e32 v101, v105
	v_pk_fma_f32 v[96:97], v[10:11], s[6:7], v[94:95]
	v_pk_fma_f32 v[98:99], v[10:11], s[6:7], v[94:95] neg_lo:[1,0,0] neg_hi:[1,0,0]
	v_mov_b32_e32 v67, v69
	v_mov_b32_e32 v98, v96
	v_pk_add_f32 v[88:89], v[98:99], v[88:89]
	ds_write2_b64 v156, v[86:87], v[88:89] offset0:26 offset1:39
	v_pk_mul_f32 v[86:87], v[64:65], s[16:17] op_sel_hi:[1,0]
	v_mov_b32_e32 v29, v31
	v_pk_fma_f32 v[88:89], v[62:63], s[56:57], v[86:87] op_sel:[0,0,1] op_sel_hi:[1,0,0]
	v_pk_fma_f32 v[86:87], v[62:63], s[56:57], v[86:87] op_sel:[0,0,1] op_sel_hi:[1,0,0] neg_lo:[0,0,1] neg_hi:[0,0,1]
	v_mov_b32_e32 v98, v88
	v_mov_b32_e32 v99, v87
	v_pk_add_f32 v[98:99], v[98:99], v[0:1]
	v_mov_b32_e32 v87, v89
	v_pk_add_f32 v[98:99], v[106:107], v[98:99]
	v_pk_mul_f32 v[106:107], v[18:19], s[38:39]
	v_mov_b32_e32 v33, v39
	v_pk_fma_f32 v[108:109], v[4:5], s[22:23], v[106:107]
	v_pk_fma_f32 v[110:111], v[4:5], s[22:23], v[106:107] neg_lo:[1,0,0] neg_hi:[1,0,0]
	v_mov_b32_e32 v71, v73
	v_mov_b32_e32 v110, v108
	v_pk_add_f32 v[98:99], v[110:111], v[98:99]
	v_pk_mul_f32 v[110:111], v[20:21], s[30:31]
	s_nop 0
	v_pk_fma_f32 v[112:113], v[6:7], s[2:3], v[110:111]
	v_pk_fma_f32 v[114:115], v[6:7], s[2:3], v[110:111] neg_lo:[1,0,0] neg_hi:[1,0,0]
	s_nop 0
	v_mov_b32_e32 v114, v112
	v_pk_add_f32 v[98:99], v[114:115], v[98:99]
	v_pk_mul_f32 v[114:115], v[22:23], s[52:53]
	s_nop 0
	v_pk_fma_f32 v[116:117], v[8:9], s[40:41], v[114:115]
	v_pk_fma_f32 v[118:119], v[8:9], s[40:41], v[114:115] neg_lo:[1,0,0] neg_hi:[1,0,0]
	s_nop 0
	;; [unrolled: 7-line block ×3, first 2 shown]
	v_mov_b32_e32 v122, v120
	v_pk_add_f32 v[98:99], v[122:123], v[98:99]
	v_pk_mul_f32 v[122:123], v[64:65], s[26:27] op_sel_hi:[1,0]
	v_pk_mul_f32 v[64:65], v[64:65], s[28:29] op_sel_hi:[1,0]
	v_pk_fma_f32 v[124:125], v[62:63], s[54:55], v[122:123] op_sel:[0,0,1] op_sel_hi:[1,0,0]
	v_pk_fma_f32 v[122:123], v[62:63], s[54:55], v[122:123] op_sel:[0,0,1] op_sel_hi:[1,0,0] neg_lo:[0,0,1] neg_hi:[0,0,1]
	v_mov_b32_e32 v126, v124
	v_mov_b32_e32 v127, v123
	v_pk_add_f32 v[126:127], v[126:127], v[0:1]
	v_mov_b32_e32 v123, v125
	v_pk_add_f32 v[126:127], v[132:133], v[126:127]
	v_pk_mul_f32 v[132:133], v[18:19], s[24:25]
	v_pk_mul_f32 v[18:19], v[18:19], s[26:27]
	v_pk_fma_f32 v[134:135], v[4:5], s[0:1], v[132:133]
	v_pk_fma_f32 v[136:137], v[4:5], s[0:1], v[132:133] neg_lo:[1,0,0] neg_hi:[1,0,0]
	s_nop 0
	v_mov_b32_e32 v136, v134
	v_pk_add_f32 v[126:127], v[136:137], v[126:127]
	v_pk_mul_f32 v[136:137], v[20:21], s[52:53]
	v_pk_mul_f32 v[20:21], v[20:21], s[50:51]
	v_pk_fma_f32 v[138:139], v[6:7], s[40:41], v[136:137]
	v_pk_fma_f32 v[140:141], v[6:7], s[40:41], v[136:137] neg_lo:[1,0,0] neg_hi:[1,0,0]
	v_pk_fma_f32 v[150:151], v[6:7], s[42:43], v[20:21] neg_lo:[1,0,0] neg_hi:[1,0,0]
	v_mov_b32_e32 v140, v138
	v_pk_add_f32 v[126:127], v[140:141], v[126:127]
	v_pk_mul_f32 v[140:141], v[22:23], s[38:39]
	v_pk_mul_f32 v[22:23], v[22:23], s[16:17]
	v_pk_fma_f32 v[142:143], v[8:9], s[22:23], v[140:141]
	v_pk_fma_f32 v[144:145], v[8:9], s[22:23], v[140:141] neg_lo:[1,0,0] neg_hi:[1,0,0]
	v_pk_fma_f32 v[152:153], v[8:9], s[12:13], v[22:23] neg_lo:[1,0,0] neg_hi:[1,0,0]
	v_mov_b32_e32 v144, v142
	v_pk_add_f32 v[126:127], v[144:145], v[126:127]
	v_pk_mul_f32 v[144:145], v[26:27], s[16:17]
	v_pk_mul_f32 v[26:27], v[26:27], s[36:37]
	v_pk_fma_f32 v[146:147], v[10:11], s[12:13], v[144:145]
	v_pk_fma_f32 v[148:149], v[10:11], s[12:13], v[144:145] neg_lo:[1,0,0] neg_hi:[1,0,0]
	v_pk_fma_f32 v[154:155], v[10:11], s[20:21], v[26:27] neg_lo:[1,0,0] neg_hi:[1,0,0]
	v_mov_b32_e32 v148, v146
	v_pk_add_f32 v[126:127], v[148:149], v[126:127]
	ds_write2_b64 v156, v[98:99], v[126:127] offset0:52 offset1:65
	v_pk_fma_f32 v[98:99], v[62:63], s[14:15], v[64:65] op_sel:[0,0,1] op_sel_hi:[1,0,0]
	v_pk_fma_f32 v[62:63], v[62:63], s[14:15], v[64:65] op_sel:[0,0,1] op_sel_hi:[1,0,0] neg_lo:[0,0,1] neg_hi:[0,0,1]
	s_mov_b32 s14, s15
	v_pk_fma_f32 v[64:65], v[58:59], s[14:15], v[60:61] op_sel:[0,0,1] op_sel_hi:[1,0,0]
	v_pk_fma_f32 v[58:59], v[58:59], s[14:15], v[60:61] op_sel:[0,0,1] op_sel_hi:[1,0,0] neg_lo:[0,0,1] neg_hi:[0,0,1]
	v_mov_b32_e32 v60, v98
	v_mov_b32_e32 v61, v63
	;; [unrolled: 1-line block ×4, first 2 shown]
	v_pk_add_f32 v[60:61], v[60:61], v[0:1]
	v_pk_fma_f32 v[148:149], v[4:5], s[6:7], v[18:19] neg_lo:[1,0,0] neg_hi:[1,0,0]
	v_pk_add_f32 v[60:61], v[126:127], v[60:61]
	v_pk_fma_f32 v[126:127], v[4:5], s[6:7], v[18:19]
	v_mov_b32_e32 v63, v99
	v_mov_b32_e32 v148, v126
	v_pk_add_f32 v[60:61], v[148:149], v[60:61]
	v_pk_fma_f32 v[148:149], v[6:7], s[42:43], v[20:21]
	v_pk_fma_f32 v[18:19], v[4:5], s[6:7], v[18:19] neg_lo:[0,0,1] neg_hi:[0,0,1]
	v_mov_b32_e32 v150, v148
	v_mov_b32_e32 v59, v65
	v_pk_add_f32 v[62:63], v[62:63], v[0:1]
	v_pk_add_f32 v[60:61], v[150:151], v[60:61]
	v_pk_fma_f32 v[150:151], v[8:9], s[12:13], v[22:23]
	v_mov_b32_e32 v19, v127
	v_pk_fma_f32 v[20:21], v[6:7], s[42:43], v[20:21] neg_lo:[0,0,1] neg_hi:[0,0,1]
	v_pk_add_f32 v[58:59], v[58:59], v[62:63]
	v_mov_b32_e32 v152, v150
	v_mov_b32_e32 v21, v149
	v_pk_fma_f32 v[22:23], v[8:9], s[12:13], v[22:23] neg_lo:[0,0,1] neg_hi:[0,0,1]
	v_pk_add_f32 v[18:19], v[18:19], v[58:59]
	v_pk_add_f32 v[60:61], v[152:153], v[60:61]
	v_pk_fma_f32 v[152:153], v[10:11], s[20:21], v[26:27]
	v_mov_b32_e32 v23, v151
	v_pk_fma_f32 v[26:27], v[10:11], s[20:21], v[26:27] neg_lo:[0,0,1] neg_hi:[0,0,1]
	v_pk_add_f32 v[18:19], v[20:21], v[18:19]
	v_mov_b32_e32 v154, v152
	v_mov_b32_e32 v27, v153
	v_pk_add_f32 v[18:19], v[22:23], v[18:19]
	v_pk_add_f32 v[60:61], v[154:155], v[60:61]
	;; [unrolled: 1-line block ×3, first 2 shown]
	ds_write2_b64 v156, v[60:61], v[18:19] offset0:78 offset1:91
	v_pk_fma_f32 v[18:19], v[4:5], s[0:1], v[132:133] neg_lo:[0,0,1] neg_hi:[0,0,1]
	v_pk_add_f32 v[58:59], v[122:123], v[0:1]
	v_mov_b32_e32 v19, v135
	v_pk_fma_f32 v[20:21], v[6:7], s[40:41], v[136:137] neg_lo:[0,0,1] neg_hi:[0,0,1]
	v_pk_add_f32 v[58:59], v[128:129], v[58:59]
	v_mov_b32_e32 v21, v139
	;; [unrolled: 3-line block ×3, first 2 shown]
	v_pk_fma_f32 v[26:27], v[10:11], s[12:13], v[144:145] neg_lo:[0,0,1] neg_hi:[0,0,1]
	v_pk_add_f32 v[18:19], v[20:21], v[18:19]
	v_pk_fma_f32 v[20:21], v[4:5], s[22:23], v[106:107] neg_lo:[0,0,1] neg_hi:[0,0,1]
	v_pk_add_f32 v[60:61], v[86:87], v[0:1]
	v_mov_b32_e32 v27, v147
	v_pk_add_f32 v[18:19], v[22:23], v[18:19]
	v_mov_b32_e32 v21, v109
	v_pk_fma_f32 v[22:23], v[6:7], s[2:3], v[110:111] neg_lo:[0,0,1] neg_hi:[0,0,1]
	v_pk_add_f32 v[60:61], v[100:101], v[60:61]
	v_pk_add_f32 v[18:19], v[26:27], v[18:19]
	v_mov_b32_e32 v23, v113
	v_pk_fma_f32 v[26:27], v[8:9], s[40:41], v[114:115] neg_lo:[0,0,1] neg_hi:[0,0,1]
	v_pk_add_f32 v[20:21], v[20:21], v[60:61]
	v_mov_b32_e32 v27, v117
	v_pk_fma_f32 v[58:59], v[10:11], s[42:43], v[118:119] neg_lo:[0,0,1] neg_hi:[0,0,1]
	v_pk_add_f32 v[20:21], v[22:23], v[20:21]
	v_mov_b32_e32 v59, v121
	v_pk_add_f32 v[20:21], v[26:27], v[20:21]
	s_nop 0
	v_pk_add_f32 v[20:21], v[58:59], v[20:21]
	ds_write2_b64 v156, v[18:19], v[20:21] offset0:104 offset1:117
	v_pk_add_f32 v[18:19], v[24:25], v[0:1]
	v_pk_fma_f32 v[20:21], v[10:11], s[6:7], v[94:95] neg_lo:[0,0,1] neg_hi:[0,0,1]
	v_pk_add_f32 v[18:19], v[40:41], v[18:19]
	v_mov_b32_e32 v21, v97
	v_pk_add_f32 v[2:3], v[2:3], v[18:19]
	v_pk_fma_f32 v[18:19], v[8:9], s[0:1], v[90:91] neg_lo:[0,0,1] neg_hi:[0,0,1]
	v_pk_add_f32 v[2:3], v[14:15], v[2:3]
	v_pk_fma_f32 v[14:15], v[4:5], s[34:35], v[76:77] neg_lo:[0,0,1] neg_hi:[0,0,1]
	v_pk_add_f32 v[2:3], v[16:17], v[2:3]
	v_pk_fma_f32 v[4:5], v[4:5], s[8:9], v[44:45] neg_lo:[0,0,1] neg_hi:[0,0,1]
	v_pk_add_f32 v[2:3], v[12:13], v[2:3]
	v_pk_add_f32 v[12:13], v[66:67], v[0:1]
	;; [unrolled: 1-line block ×3, first 2 shown]
	v_mov_b32_e32 v5, v43
	v_pk_add_f32 v[0:1], v[32:33], v[0:1]
	v_mov_b32_e32 v15, v75
	v_pk_add_f32 v[0:1], v[4:5], v[0:1]
	v_pk_fma_f32 v[4:5], v[6:7], s[18:19], v[48:49] neg_lo:[0,0,1] neg_hi:[0,0,1]
	v_pk_fma_f32 v[16:17], v[6:7], s[22:23], v[80:81] neg_lo:[0,0,1] neg_hi:[0,0,1]
	v_mov_b32_e32 v5, v47
	v_pk_add_f32 v[12:13], v[70:71], v[12:13]
	v_pk_add_f32 v[0:1], v[4:5], v[0:1]
	v_pk_fma_f32 v[4:5], v[8:9], s[20:21], v[52:53] neg_lo:[0,0,1] neg_hi:[0,0,1]
	v_mov_b32_e32 v17, v79
	v_pk_add_f32 v[12:13], v[14:15], v[12:13]
	v_mov_b32_e32 v5, v51
	v_mov_b32_e32 v19, v93
	v_pk_add_f32 v[12:13], v[16:17], v[12:13]
	v_pk_add_f32 v[0:1], v[4:5], v[0:1]
	v_pk_fma_f32 v[4:5], v[10:11], s[22:23], v[56:57] neg_lo:[0,0,1] neg_hi:[0,0,1]
	v_pk_add_f32 v[12:13], v[18:19], v[12:13]
	v_mov_b32_e32 v5, v55
	v_pk_add_f32 v[12:13], v[20:21], v[12:13]
	v_pk_add_f32 v[0:1], v[4:5], v[0:1]
	ds_write2_b64 v156, v[12:13], v[0:1] offset0:130 offset1:143
	ds_write_b64 v156, v[2:3] offset:1248
	s_waitcnt lgkmcnt(0)
	; wave barrier
	s_waitcnt lgkmcnt(0)
	ds_read2_b64 v[26:29], v83 offset1:52
	ds_read2_b64 v[10:13], v83 offset0:104 offset1:169
	ds_read2_b64 v[30:33], v85 offset0:82 offset1:134
	ds_read2_b64 v[22:25], v85 offset0:186 offset1:251
	ds_read2_b64 v[18:21], v82 offset0:93 offset1:145
	ds_read2_b64 v[14:17], v84 offset0:47 offset1:99
	v_cmp_gt_u32_e64 s[0:1], 13, v102
                                        ; implicit-def: $vgpr6
	s_and_saveexec_b64 s[2:3], s[0:1]
	s_cbranch_execz .LBB0_15
; %bb.14:
	v_mul_i32_i24_e32 v0, 0xffffffa0, v102
	v_add_u32_e32 v0, v103, v0
	v_add_u32_e32 v1, 0x400, v0
	;; [unrolled: 1-line block ×3, first 2 shown]
	ds_read2_b64 v[2:5], v1 offset0:28 offset1:197
	ds_read2_b64 v[6:9], v0 offset0:46 offset1:215
.LBB0_15:
	s_or_b64 exec, exec, s[2:3]
	s_and_saveexec_b64 s[2:3], vcc
	s_cbranch_execz .LBB0_18
; %bb.16:
	v_mul_u32_u24_e32 v0, 3, v102
	v_lshlrev_b32_e32 v0, 3, v0
	global_load_dwordx4 v[38:41], v0, s[4:5] offset:1248
	global_load_dwordx2 v[50:51], v0, s[4:5] offset:1264
	v_add_u32_e32 v48, 0x68, v102
	v_mov_b32_e32 v0, 0xffffff64
	v_mov_b32_e32 v1, 0
	v_mad_u32_u24 v0, v48, 3, v0
	v_lshl_add_u64 v[46:47], v[0:1], 3, s[4:5]
	global_load_dwordx4 v[42:45], v[46:47], off offset:1248
	global_load_dwordx2 v[52:53], v[46:47], off offset:1264
	v_mul_lo_u32 v0, s45, v36
	v_mul_lo_u32 v46, s44, v37
	v_mad_u64_u32 v[36:37], s[2:3], s44, v36, 0
	s_mov_b32 s6, 0x60f25deb
	v_add_u32_e32 v55, 52, v102
	v_add3_u32 v37, v37, v46, v0
	v_mul_u32_u24_e32 v0, 3, v48
	v_mul_hi_u32 v46, v102, s6
	v_mul_hi_u32 v47, v55, s6
	v_lshlrev_b32_e32 v0, 3, v0
	v_lshrrev_b32_e32 v57, 6, v46
	v_lshrrev_b32_e32 v60, 6, v47
	global_load_dwordx2 v[58:59], v0, s[4:5] offset:1264
	global_load_dwordx4 v[46:49], v0, s[4:5] offset:1248
	s_waitcnt lgkmcnt(1)
	v_mov_b32_e32 v54, v19
	s_waitcnt lgkmcnt(0)
	v_mov_b32_e32 v56, v15
	s_movk_i32 s7, 0xa9
	v_lshl_add_u64 v[36:37], v[36:37], 3, s[10:11]
	v_mul_lo_u32 v0, v57, s7
	v_lshl_add_u64 v[34:35], v[34:35], 3, v[36:37]
	v_mul_lo_u32 v36, v60, s7
	s_movk_i32 s8, 0x2a4
	v_sub_u32_e32 v0, v102, v0
	v_sub_u32_e32 v36, v55, v36
	v_lshlrev_b32_e32 v0, 3, v0
	v_mad_u64_u32 v[36:37], s[2:3], v60, s8, v[36:37]
	v_lshl_add_u64 v[60:61], v[34:35], 0, v[0:1]
	v_add_u32_e32 v0, 0xa9, v36
	v_lshl_add_u64 v[64:65], v[0:1], 3, v[34:35]
	v_add_u32_e32 v0, 0x152, v36
	v_mov_b32_e32 v37, v1
	v_lshl_add_u64 v[66:67], v[0:1], 3, v[34:35]
	v_add_u32_e32 v0, 0x1fb, v36
	v_lshl_add_u64 v[62:63], v[36:37], 3, v[34:35]
	v_lshl_add_u64 v[36:37], v[0:1], 3, v[34:35]
	v_add_u32_e32 v0, 0x68, v102
	s_waitcnt vmcnt(5)
	v_pk_mul_f32 v[68:69], v[40:41], v[30:31] op_sel:[0,1]
	v_pk_mul_f32 v[70:71], v[38:39], v[12:13] op_sel:[0,1]
	s_waitcnt vmcnt(4)
	v_pk_mul_f32 v[72:73], v[50:51], v[24:25] op_sel:[0,1]
	v_pk_fma_f32 v[74:75], v[40:41], v[30:31], v[68:69] op_sel:[0,0,1] op_sel_hi:[1,1,0]
	v_pk_fma_f32 v[30:31], v[40:41], v[30:31], v[68:69] op_sel:[0,0,1] op_sel_hi:[1,0,0] neg_lo:[1,0,0] neg_hi:[1,0,0]
	v_pk_fma_f32 v[40:41], v[38:39], v[12:13], v[70:71] op_sel:[0,0,1] op_sel_hi:[1,1,0]
	v_pk_fma_f32 v[12:13], v[38:39], v[12:13], v[70:71] op_sel:[0,0,1] op_sel_hi:[1,0,0] neg_lo:[1,0,0] neg_hi:[1,0,0]
	;; [unrolled: 2-line block ×3, first 2 shown]
	s_waitcnt vmcnt(3)
	v_pk_mul_f32 v[50:51], v[44:45], v[32:33] op_sel:[0,1]
	v_pk_mul_f32 v[68:69], v[42:43], v[18:19] op_sel:[1,0] op_sel_hi:[0,0]
	s_waitcnt vmcnt(2)
	v_pk_mul_f32 v[70:71], v[52:53], v[14:15] op_sel:[1,0] op_sel_hi:[0,0]
	v_mov_b32_e32 v75, v31
	v_mov_b32_e32 v41, v13
	;; [unrolled: 1-line block ×3, first 2 shown]
	v_pk_fma_f32 v[12:13], v[44:45], v[32:33], v[50:51] op_sel:[0,0,1] op_sel_hi:[1,1,0]
	v_pk_fma_f32 v[24:25], v[44:45], v[32:33], v[50:51] op_sel:[0,0,1] op_sel_hi:[1,0,0] neg_lo:[1,0,0] neg_hi:[1,0,0]
	v_pk_fma_f32 v[30:31], v[42:43], v[54:55], v[68:69] neg_lo:[0,0,1] neg_hi:[0,0,1]
	v_pk_fma_f32 v[18:19], v[42:43], v[18:19], v[68:69] op_sel:[0,1,0]
	v_pk_fma_f32 v[32:33], v[52:53], v[56:57], v[70:71] neg_lo:[0,0,1] neg_hi:[0,0,1]
	v_pk_fma_f32 v[14:15], v[52:53], v[14:15], v[70:71] op_sel:[0,1,0]
	v_pk_add_f32 v[42:43], v[26:27], v[74:75] neg_lo:[0,1] neg_hi:[0,1]
	v_pk_add_f32 v[38:39], v[40:41], v[38:39] neg_lo:[0,1] neg_hi:[0,1]
	v_mov_b32_e32 v13, v25
	v_mov_b32_e32 v31, v19
	;; [unrolled: 1-line block ×3, first 2 shown]
	v_pk_fma_f32 v[14:15], v[26:27], 2.0, v[42:43] op_sel_hi:[1,0,1] neg_lo:[0,0,1] neg_hi:[0,0,1]
	v_pk_fma_f32 v[18:19], v[40:41], 2.0, v[38:39] op_sel_hi:[1,0,1] neg_lo:[0,0,1] neg_hi:[0,0,1]
	v_pk_add_f32 v[24:25], v[42:43], v[38:39] op_sel:[0,1] op_sel_hi:[1,0]
	v_pk_add_f32 v[26:27], v[42:43], v[38:39] op_sel:[0,1] op_sel_hi:[1,0] neg_lo:[0,1] neg_hi:[0,1]
	v_pk_add_f32 v[12:13], v[28:29], v[12:13] neg_lo:[0,1] neg_hi:[0,1]
	v_pk_add_f32 v[32:33], v[30:31], v[32:33] neg_lo:[0,1] neg_hi:[0,1]
	;; [unrolled: 1-line block ×3, first 2 shown]
	v_mov_b32_e32 v25, v27
	v_pk_add_f32 v[26:27], v[12:13], v[32:33]
	v_pk_add_f32 v[38:39], v[12:13], v[32:33] neg_lo:[0,1] neg_hi:[0,1]
	v_pk_fma_f32 v[14:15], v[14:15], 2.0, v[18:19] op_sel_hi:[1,0,1] neg_lo:[0,0,1] neg_hi:[0,0,1]
	v_mov_b32_e32 v27, v39
	v_pk_fma_f32 v[40:41], v[42:43], 2.0, v[24:25] op_sel_hi:[1,0,1] neg_lo:[0,0,1] neg_hi:[0,0,1]
	global_store_dwordx2 v[60:61], v[18:19], off offset:2704
	global_store_dwordx2 v[60:61], v[24:25], off offset:4056
	global_store_dwordx2 v[60:61], v[14:15], off
	global_store_dwordx2 v[60:61], v[40:41], off offset:1352
	v_pk_fma_f32 v[14:15], v[12:13], 2.0, v[26:27] op_sel_hi:[1,0,1] neg_lo:[0,0,1] neg_hi:[0,0,1]
	global_store_dwordx2 v[64:65], v[14:15], off
	v_pk_fma_f32 v[12:13], v[28:29], 2.0, v[12:13] op_sel_hi:[1,0,1] neg_lo:[0,0,1] neg_hi:[0,0,1]
	v_pk_fma_f32 v[14:15], v[30:31], 2.0, v[32:33] op_sel_hi:[1,0,1] neg_lo:[0,0,1] neg_hi:[0,0,1]
	s_nop 0
	v_pk_add_f32 v[14:15], v[12:13], v[14:15] op_sel:[0,1] op_sel_hi:[1,0] neg_lo:[0,1] neg_hi:[0,1]
	s_nop 0
	v_pk_fma_f32 v[12:13], v[12:13], 2.0, v[14:15] op_sel_hi:[1,0,1] neg_lo:[0,0,1] neg_hi:[0,0,1]
	global_store_dwordx2 v[62:63], v[12:13], off
	global_store_dwordx2 v[66:67], v[14:15], off
	;; [unrolled: 1-line block ×3, first 2 shown]
	v_mul_hi_u32 v12, v0, s6
	v_lshrrev_b32_e32 v12, 6, v12
	v_mul_lo_u32 v13, v12, s7
	v_sub_u32_e32 v0, v0, v13
	v_mad_u64_u32 v[12:13], s[2:3], v12, s8, v[0:1]
	v_add_u32_e32 v0, 0xa9, v12
	v_lshl_add_u64 v[18:19], v[0:1], 3, v[34:35]
	v_add_u32_e32 v0, 0x152, v12
	v_mov_b32_e32 v13, v1
	v_lshl_add_u64 v[24:25], v[0:1], 3, v[34:35]
	v_add_u32_e32 v0, 0x1fb, v12
	v_lshl_add_u64 v[14:15], v[12:13], 3, v[34:35]
	v_lshl_add_u64 v[12:13], v[0:1], 3, v[34:35]
	s_waitcnt vmcnt(8)
	v_mov_b32_e32 v0, v49
	v_pk_mul_f32 v[26:27], v[22:23], v[0:1] op_sel_hi:[1,0]
	v_mov_b32_e32 v0, v21
	v_pk_fma_f32 v[28:29], v[22:23], v[48:49], v[26:27] op_sel:[0,0,1] op_sel_hi:[1,1,0]
	v_pk_fma_f32 v[22:23], v[22:23], v[48:49], v[26:27] op_sel:[0,0,1] op_sel_hi:[1,0,0] neg_lo:[0,0,1] neg_hi:[0,0,1]
	v_pk_mul_f32 v[26:27], v[46:47], v[20:21] op_sel:[1,0] op_sel_hi:[0,0]
	v_mov_b32_e32 v29, v23
	v_pk_add_f32 v[22:23], v[10:11], v[28:29] neg_lo:[0,1] neg_hi:[0,1]
	v_pk_fma_f32 v[28:29], v[46:47], v[0:1], v[26:27] neg_lo:[0,0,1] neg_hi:[0,0,1]
	v_pk_fma_f32 v[20:21], v[46:47], v[20:21], v[26:27] op_sel:[0,1,0]
	v_mov_b32_e32 v0, v17
	v_mov_b32_e32 v29, v21
	v_pk_mul_f32 v[20:21], v[16:17], v[58:59] op_sel:[0,1] op_sel_hi:[0,0]
	v_pk_fma_f32 v[26:27], v[0:1], v[58:59], v[20:21] neg_lo:[0,0,1] neg_hi:[0,0,1]
	v_pk_fma_f32 v[16:17], v[16:17], v[58:59], v[20:21] op_sel:[1,0,0]
	v_pk_fma_f32 v[10:11], v[10:11], 2.0, v[22:23] op_sel_hi:[1,0,1] neg_lo:[0,0,1] neg_hi:[0,0,1]
	v_mov_b32_e32 v27, v17
	v_pk_add_f32 v[16:17], v[28:29], v[26:27] neg_lo:[0,1] neg_hi:[0,1]
	s_nop 0
	v_pk_add_f32 v[20:21], v[22:23], v[16:17]
	v_pk_add_f32 v[26:27], v[22:23], v[16:17] neg_lo:[0,1] neg_hi:[0,1]
	v_pk_fma_f32 v[16:17], v[28:29], 2.0, v[16:17] op_sel_hi:[1,0,1] neg_lo:[0,0,1] neg_hi:[0,0,1]
	v_mov_b32_e32 v21, v27
	v_pk_add_f32 v[16:17], v[10:11], v[16:17] op_sel:[0,1] op_sel_hi:[1,0] neg_lo:[0,1] neg_hi:[0,1]
	v_pk_fma_f32 v[26:27], v[22:23], 2.0, v[20:21] op_sel_hi:[1,0,1] neg_lo:[0,0,1] neg_hi:[0,0,1]
	v_pk_fma_f32 v[10:11], v[10:11], 2.0, v[16:17] op_sel_hi:[1,0,1] neg_lo:[0,0,1] neg_hi:[0,0,1]
	global_store_dwordx2 v[18:19], v[26:27], off
	global_store_dwordx2 v[14:15], v[10:11], off
	;; [unrolled: 1-line block ×4, first 2 shown]
	v_add_u32_e32 v10, 0x9c, v102
	v_cmp_gt_u32_e32 vcc, s7, v10
	s_and_b64 exec, exec, vcc
	s_cbranch_execz .LBB0_18
; %bb.17:
	v_mov_b32_e32 v0, 0x9c
	v_cndmask_b32_e64 v0, -13, v0, s[0:1]
	v_add_u32_e32 v0, v102, v0
	v_mul_i32_i24_e32 v0, 3, v0
	v_lshl_add_u64 v[16:17], v[0:1], 3, s[4:5]
	global_load_dwordx4 v[12:15], v[16:17], off offset:1248
	global_load_dwordx2 v[18:19], v[16:17], off offset:1264
	v_mov_b32_e32 v20, v7
	v_mov_b32_e32 v16, v5
	;; [unrolled: 1-line block ×3, first 2 shown]
	v_add_u32_e32 v0, 0x145, v102
	v_lshl_add_u64 v[24:25], v[0:1], 3, v[34:35]
	v_add_u32_e32 v0, 0x1ee, v102
	v_mov_b32_e32 v11, v1
	v_lshl_add_u64 v[26:27], v[0:1], 3, v[34:35]
	v_add_u32_e32 v0, 0x297, v102
	v_lshl_add_u64 v[10:11], v[10:11], 3, v[34:35]
	v_lshl_add_u64 v[0:1], v[0:1], 3, v[34:35]
	s_waitcnt vmcnt(1)
	v_pk_mul_f32 v[4:5], v[4:5], v[12:13] op_sel_hi:[0,1]
	v_pk_mul_f32 v[20:21], v[20:21], v[14:15] op_sel_hi:[0,1]
	s_waitcnt vmcnt(0)
	v_pk_mul_f32 v[8:9], v[8:9], v[18:19] op_sel_hi:[0,1]
	v_pk_fma_f32 v[28:29], v[16:17], v[12:13], v[4:5] op_sel:[0,0,1] op_sel_hi:[0,1,0] neg_lo:[0,0,1] neg_hi:[0,0,1]
	v_pk_fma_f32 v[4:5], v[16:17], v[12:13], v[4:5] op_sel:[0,0,1] op_sel_hi:[0,1,0]
	v_pk_fma_f32 v[12:13], v[6:7], v[14:15], v[20:21] op_sel:[0,0,1] op_sel_hi:[1,1,0]
	v_pk_fma_f32 v[6:7], v[6:7], v[14:15], v[20:21] op_sel:[0,0,1] op_sel_hi:[0,1,0] neg_lo:[1,0,0] neg_hi:[1,0,0]
	v_pk_fma_f32 v[14:15], v[22:23], v[18:19], v[8:9] op_sel:[0,0,1] op_sel_hi:[0,1,0] neg_lo:[0,0,1] neg_hi:[0,0,1]
	v_pk_fma_f32 v[8:9], v[22:23], v[18:19], v[8:9] op_sel:[0,0,1] op_sel_hi:[0,1,0]
	v_mov_b32_e32 v29, v5
	v_mov_b32_e32 v13, v7
	;; [unrolled: 1-line block ×3, first 2 shown]
	v_pk_add_f32 v[4:5], v[2:3], v[12:13] neg_lo:[0,1] neg_hi:[0,1]
	v_pk_add_f32 v[6:7], v[28:29], v[14:15] neg_lo:[0,1] neg_hi:[0,1]
	v_pk_fma_f32 v[2:3], v[2:3], 2.0, v[4:5] op_sel_hi:[1,0,1] neg_lo:[0,0,1] neg_hi:[0,0,1]
	v_pk_fma_f32 v[8:9], v[28:29], 2.0, v[6:7] op_sel_hi:[1,0,1] neg_lo:[0,0,1] neg_hi:[0,0,1]
	v_pk_add_f32 v[12:13], v[4:5], v[6:7]
	v_pk_add_f32 v[6:7], v[4:5], v[6:7] neg_lo:[0,1] neg_hi:[0,1]
	v_pk_add_f32 v[8:9], v[2:3], v[8:9] op_sel:[0,1] op_sel_hi:[1,0] neg_lo:[0,1] neg_hi:[0,1]
	v_mov_b32_e32 v13, v7
	v_pk_fma_f32 v[2:3], v[2:3], 2.0, v[8:9] op_sel_hi:[1,0,1] neg_lo:[0,0,1] neg_hi:[0,0,1]
	v_pk_fma_f32 v[4:5], v[4:5], 2.0, v[12:13] op_sel_hi:[1,0,1] neg_lo:[0,0,1] neg_hi:[0,0,1]
	global_store_dwordx2 v[26:27], v[8:9], off
	global_store_dwordx2 v[10:11], v[2:3], off
	;; [unrolled: 1-line block ×4, first 2 shown]
.LBB0_18:
	s_endpgm
	.section	.rodata,"a",@progbits
	.p2align	6, 0x0
	.amdhsa_kernel fft_rtc_back_len676_factors_13_13_4_wgs_52_tpt_52_sp_op_CI_CI_unitstride_sbrr_dirReg
		.amdhsa_group_segment_fixed_size 0
		.amdhsa_private_segment_fixed_size 0
		.amdhsa_kernarg_size 104
		.amdhsa_user_sgpr_count 2
		.amdhsa_user_sgpr_dispatch_ptr 0
		.amdhsa_user_sgpr_queue_ptr 0
		.amdhsa_user_sgpr_kernarg_segment_ptr 1
		.amdhsa_user_sgpr_dispatch_id 0
		.amdhsa_user_sgpr_kernarg_preload_length 0
		.amdhsa_user_sgpr_kernarg_preload_offset 0
		.amdhsa_user_sgpr_private_segment_size 0
		.amdhsa_uses_dynamic_stack 0
		.amdhsa_enable_private_segment 0
		.amdhsa_system_sgpr_workgroup_id_x 1
		.amdhsa_system_sgpr_workgroup_id_y 0
		.amdhsa_system_sgpr_workgroup_id_z 0
		.amdhsa_system_sgpr_workgroup_info 0
		.amdhsa_system_vgpr_workitem_id 0
		.amdhsa_next_free_vgpr 168
		.amdhsa_next_free_sgpr 58
		.amdhsa_accum_offset 168
		.amdhsa_reserve_vcc 1
		.amdhsa_float_round_mode_32 0
		.amdhsa_float_round_mode_16_64 0
		.amdhsa_float_denorm_mode_32 3
		.amdhsa_float_denorm_mode_16_64 3
		.amdhsa_dx10_clamp 1
		.amdhsa_ieee_mode 1
		.amdhsa_fp16_overflow 0
		.amdhsa_tg_split 0
		.amdhsa_exception_fp_ieee_invalid_op 0
		.amdhsa_exception_fp_denorm_src 0
		.amdhsa_exception_fp_ieee_div_zero 0
		.amdhsa_exception_fp_ieee_overflow 0
		.amdhsa_exception_fp_ieee_underflow 0
		.amdhsa_exception_fp_ieee_inexact 0
		.amdhsa_exception_int_div_zero 0
	.end_amdhsa_kernel
	.text
.Lfunc_end0:
	.size	fft_rtc_back_len676_factors_13_13_4_wgs_52_tpt_52_sp_op_CI_CI_unitstride_sbrr_dirReg, .Lfunc_end0-fft_rtc_back_len676_factors_13_13_4_wgs_52_tpt_52_sp_op_CI_CI_unitstride_sbrr_dirReg
                                        ; -- End function
	.section	.AMDGPU.csdata,"",@progbits
; Kernel info:
; codeLenInByte = 8688
; NumSgprs: 64
; NumVgprs: 168
; NumAgprs: 0
; TotalNumVgprs: 168
; ScratchSize: 0
; MemoryBound: 0
; FloatMode: 240
; IeeeMode: 1
; LDSByteSize: 0 bytes/workgroup (compile time only)
; SGPRBlocks: 7
; VGPRBlocks: 20
; NumSGPRsForWavesPerEU: 64
; NumVGPRsForWavesPerEU: 168
; AccumOffset: 168
; Occupancy: 3
; WaveLimiterHint : 1
; COMPUTE_PGM_RSRC2:SCRATCH_EN: 0
; COMPUTE_PGM_RSRC2:USER_SGPR: 2
; COMPUTE_PGM_RSRC2:TRAP_HANDLER: 0
; COMPUTE_PGM_RSRC2:TGID_X_EN: 1
; COMPUTE_PGM_RSRC2:TGID_Y_EN: 0
; COMPUTE_PGM_RSRC2:TGID_Z_EN: 0
; COMPUTE_PGM_RSRC2:TIDIG_COMP_CNT: 0
; COMPUTE_PGM_RSRC3_GFX90A:ACCUM_OFFSET: 41
; COMPUTE_PGM_RSRC3_GFX90A:TG_SPLIT: 0
	.text
	.p2alignl 6, 3212836864
	.fill 256, 4, 3212836864
	.type	__hip_cuid_240747ddaa026aeb,@object ; @__hip_cuid_240747ddaa026aeb
	.section	.bss,"aw",@nobits
	.globl	__hip_cuid_240747ddaa026aeb
__hip_cuid_240747ddaa026aeb:
	.byte	0                               ; 0x0
	.size	__hip_cuid_240747ddaa026aeb, 1

	.ident	"AMD clang version 19.0.0git (https://github.com/RadeonOpenCompute/llvm-project roc-6.4.0 25133 c7fe45cf4b819c5991fe208aaa96edf142730f1d)"
	.section	".note.GNU-stack","",@progbits
	.addrsig
	.addrsig_sym __hip_cuid_240747ddaa026aeb
	.amdgpu_metadata
---
amdhsa.kernels:
  - .agpr_count:     0
    .args:
      - .actual_access:  read_only
        .address_space:  global
        .offset:         0
        .size:           8
        .value_kind:     global_buffer
      - .offset:         8
        .size:           8
        .value_kind:     by_value
      - .actual_access:  read_only
        .address_space:  global
        .offset:         16
        .size:           8
        .value_kind:     global_buffer
      - .actual_access:  read_only
        .address_space:  global
        .offset:         24
        .size:           8
        .value_kind:     global_buffer
      - .actual_access:  read_only
        .address_space:  global
        .offset:         32
        .size:           8
        .value_kind:     global_buffer
      - .offset:         40
        .size:           8
        .value_kind:     by_value
      - .actual_access:  read_only
        .address_space:  global
        .offset:         48
        .size:           8
        .value_kind:     global_buffer
      - .actual_access:  read_only
        .address_space:  global
        .offset:         56
        .size:           8
        .value_kind:     global_buffer
      - .offset:         64
        .size:           4
        .value_kind:     by_value
      - .actual_access:  read_only
        .address_space:  global
        .offset:         72
        .size:           8
        .value_kind:     global_buffer
      - .actual_access:  read_only
        .address_space:  global
        .offset:         80
        .size:           8
        .value_kind:     global_buffer
      - .actual_access:  read_only
        .address_space:  global
        .offset:         88
        .size:           8
        .value_kind:     global_buffer
      - .actual_access:  write_only
        .address_space:  global
        .offset:         96
        .size:           8
        .value_kind:     global_buffer
    .group_segment_fixed_size: 0
    .kernarg_segment_align: 8
    .kernarg_segment_size: 104
    .language:       OpenCL C
    .language_version:
      - 2
      - 0
    .max_flat_workgroup_size: 52
    .name:           fft_rtc_back_len676_factors_13_13_4_wgs_52_tpt_52_sp_op_CI_CI_unitstride_sbrr_dirReg
    .private_segment_fixed_size: 0
    .sgpr_count:     64
    .sgpr_spill_count: 0
    .symbol:         fft_rtc_back_len676_factors_13_13_4_wgs_52_tpt_52_sp_op_CI_CI_unitstride_sbrr_dirReg.kd
    .uniform_work_group_size: 1
    .uses_dynamic_stack: false
    .vgpr_count:     168
    .vgpr_spill_count: 0
    .wavefront_size: 64
amdhsa.target:   amdgcn-amd-amdhsa--gfx950
amdhsa.version:
  - 1
  - 2
...

	.end_amdgpu_metadata
